;; amdgpu-corpus repo=ROCm/rocFFT kind=compiled arch=gfx950 opt=O3
	.text
	.amdgcn_target "amdgcn-amd-amdhsa--gfx950"
	.amdhsa_code_object_version 6
	.protected	bluestein_single_back_len3645_dim1_dp_op_CI_CI ; -- Begin function bluestein_single_back_len3645_dim1_dp_op_CI_CI
	.globl	bluestein_single_back_len3645_dim1_dp_op_CI_CI
	.p2align	8
	.type	bluestein_single_back_len3645_dim1_dp_op_CI_CI,@function
bluestein_single_back_len3645_dim1_dp_op_CI_CI: ; @bluestein_single_back_len3645_dim1_dp_op_CI_CI
; %bb.0:
	s_load_dwordx4 s[12:15], s[0:1], 0x28
	v_mul_u32_u24_e32 v1, 0x10e, v0
	v_add_u32_sdwa v120, s2, v1 dst_sel:DWORD dst_unused:UNUSED_PAD src0_sel:DWORD src1_sel:WORD_1
	v_mov_b32_e32 v121, 0
	s_waitcnt lgkmcnt(0)
	v_cmp_gt_u64_e32 vcc, s[12:13], v[120:121]
	s_and_saveexec_b64 s[2:3], vcc
	s_cbranch_execz .LBB0_2
; %bb.1:
	s_load_dwordx4 s[4:7], s[0:1], 0x0
	s_load_dwordx4 s[8:11], s[0:1], 0x18
	s_load_dwordx2 s[2:3], s[0:1], 0x38
	s_movk_i32 s0, 0xf3
	v_mul_lo_u16_sdwa v1, v1, s0 dst_sel:DWORD dst_unused:UNUSED_PAD src0_sel:WORD_1 src1_sel:DWORD
	s_mov_b32 s0, 0
	v_mov_b32_e32 v79, s0
	s_waitcnt lgkmcnt(0)
	v_mov_b32_e32 v4, s2
	v_mov_b32_e32 v5, s3
	s_load_dwordx4 s[0:3], s[10:11], 0x0
	v_accvgpr_write_b32 a0, v4
	v_accvgpr_write_b32 a1, v5
	v_sub_u16_e32 v78, v0, v1
	v_mov_b32_e32 v2, s14
	s_waitcnt lgkmcnt(0)
	v_mad_u64_u32 v[4:5], s[10:11], s2, v120, 0
	s_load_dwordx4 s[8:11], s[8:9], 0x0
	v_mov_b32_e32 v0, v5
	v_mad_u64_u32 v[0:1], s[2:3], s3, v120, v[0:1]
	v_mov_b32_e32 v5, v0
	v_accvgpr_write_b32 a2, v4
	s_waitcnt lgkmcnt(0)
	v_mad_u64_u32 v[0:1], s[2:3], s10, v120, 0
	v_accvgpr_write_b32 a3, v5
	v_mov_b32_e32 v4, v1
	v_mad_u64_u32 v[4:5], s[2:3], s11, v120, v[4:5]
	v_mov_b32_e32 v1, v4
	v_mad_u64_u32 v[4:5], s[2:3], s8, v78, 0
	v_mov_b32_e32 v6, v5
	v_mov_b32_e32 v3, s15
	v_mad_u64_u32 v[6:7], s[2:3], s9, v78, v[6:7]
	v_mov_b32_e32 v5, v6
	v_lshl_add_u64 v[0:1], v[0:1], 4, v[2:3]
	v_lshl_add_u64 v[8:9], v[4:5], 4, v[0:1]
	v_lshlrev_b32_e32 v120, 4, v78
	global_load_dwordx4 v[0:3], v[8:9], off
	global_load_dwordx4 v[10:13], v120, s[4:5]
	s_mov_b64 s[2:3], 0x2d9
	v_mov_b32_e32 v126, 0x2d90
	v_lshl_add_u64 v[76:77], s[4:5], 0, v[120:121]
	v_lshl_add_u64 v[80:81], v[78:79], 0, s[2:3]
	v_mad_u64_u32 v[8:9], s[2:3], s8, v126, v[8:9]
	s_movk_i32 s21, 0x2000
	s_mul_i32 s2, s9, 0x2d90
	v_add_u32_e32 v9, s2, v9
	s_movk_i32 s3, 0x5000
	s_movk_i32 s22, 0x1000
	;; [unrolled: 1-line block ×3, first 2 shown]
	s_mov_b32 s14, 0x4755a5e
	s_mov_b32 s17, 0xbfee6f0e
	s_mov_b32 s15, 0x3fe2cf23
	s_mov_b32 s13, 0xbfe2cf23
	s_mov_b32 s12, s14
	s_movk_i32 s18, 0x89
	s_movk_i32 s24, 0xff79
	s_mov_b32 s25, -1
	s_movk_i32 s23, 0x195
	s_waitcnt vmcnt(0)
	v_accvgpr_write_b32 a4, v10
	v_mul_f64 v[4:5], v[2:3], v[12:13]
	v_fmac_f64_e32 v[4:5], v[0:1], v[10:11]
	v_mul_f64 v[0:1], v[0:1], v[12:13]
	v_fma_f64 v[6:7], v[2:3], v[10:11], -v[0:1]
	ds_write_b128 v120, v[4:7]
	v_add_co_u32_e32 v4, vcc, s21, v76
	v_accvgpr_write_b32 a5, v11
	s_nop 0
	v_addc_co_u32_e32 v5, vcc, 0, v77, vcc
	v_accvgpr_write_b32 a6, v12
	v_accvgpr_write_b32 a7, v13
	global_load_dwordx4 v[0:3], v[8:9], off
	global_load_dwordx4 v[10:13], v[4:5], off offset:3472
	v_mad_u64_u32 v[8:9], s[10:11], s8, v126, v[8:9]
	v_add_u32_e32 v9, s2, v9
	s_waitcnt vmcnt(0)
	v_mul_f64 v[4:5], v[2:3], v[12:13]
	v_fmac_f64_e32 v[4:5], v[0:1], v[10:11]
	v_mul_f64 v[0:1], v[0:1], v[12:13]
	v_fma_f64 v[6:7], v[2:3], v[10:11], -v[0:1]
	ds_write_b128 v120, v[4:7] offset:11664
	v_add_co_u32_e32 v4, vcc, s3, v76
	v_accvgpr_write_b32 a15, v13
	s_nop 0
	v_addc_co_u32_e32 v5, vcc, 0, v77, vcc
	v_accvgpr_write_b32 a14, v12
	v_accvgpr_write_b32 a13, v11
	;; [unrolled: 1-line block ×3, first 2 shown]
	global_load_dwordx4 v[0:3], v[8:9], off
	global_load_dwordx4 v[10:13], v[4:5], off offset:2848
	s_mov_b32 s3, 0x8000
	v_mad_u64_u32 v[8:9], s[10:11], s8, v126, v[8:9]
	v_add_u32_e32 v9, s2, v9
	s_waitcnt vmcnt(0)
	v_mul_f64 v[4:5], v[2:3], v[12:13]
	v_fmac_f64_e32 v[4:5], v[0:1], v[10:11]
	v_mul_f64 v[0:1], v[0:1], v[12:13]
	v_fma_f64 v[6:7], v[2:3], v[10:11], -v[0:1]
	ds_write_b128 v120, v[4:7] offset:23328
	v_add_co_u32_e32 v4, vcc, s3, v76
	v_accvgpr_write_b32 a19, v13
	s_nop 0
	v_addc_co_u32_e32 v5, vcc, 0, v77, vcc
	v_accvgpr_write_b32 a18, v12
	v_accvgpr_write_b32 a17, v11
	;; [unrolled: 1-line block ×3, first 2 shown]
	global_load_dwordx4 v[0:3], v[8:9], off
	global_load_dwordx4 v[10:13], v[4:5], off offset:2224
	s_mov_b32 s3, 0xb000
	v_mad_u64_u32 v[8:9], s[10:11], s8, v126, v[8:9]
	v_add_u32_e32 v9, s2, v9
	s_mov_b64 s[10:11], 0xf3
	v_lshl_add_u64 v[84:85], v[78:79], 0, s[10:11]
	s_waitcnt vmcnt(0)
	v_mul_f64 v[4:5], v[2:3], v[12:13]
	v_fmac_f64_e32 v[4:5], v[0:1], v[10:11]
	v_mul_f64 v[0:1], v[0:1], v[12:13]
	v_fma_f64 v[6:7], v[2:3], v[10:11], -v[0:1]
	ds_write_b128 v120, v[4:7] offset:34992
	v_add_co_u32_e32 v4, vcc, s3, v76
	v_accvgpr_write_b32 a39, v13
	s_nop 0
	v_addc_co_u32_e32 v5, vcc, 0, v77, vcc
	v_accvgpr_write_b32 a38, v12
	v_accvgpr_write_b32 a37, v11
	;; [unrolled: 1-line block ×3, first 2 shown]
	global_load_dwordx4 v[0:3], v[8:9], off
	global_load_dwordx4 v[10:13], v[4:5], off offset:1600
	s_mul_i32 s3, s9, 0xffff58f0
	s_sub_i32 s3, s3, s8
	s_waitcnt vmcnt(0)
	v_mul_f64 v[4:5], v[2:3], v[12:13]
	v_fmac_f64_e32 v[4:5], v[0:1], v[10:11]
	v_mul_f64 v[0:1], v[0:1], v[12:13]
	v_fma_f64 v[6:7], v[2:3], v[10:11], -v[0:1]
	v_mov_b32_e32 v0, 0xffff58f0
	v_mad_u64_u32 v[8:9], s[10:11], s8, v0, v[8:9]
	v_accvgpr_write_b32 a47, v13
	ds_write_b128 v120, v[4:7] offset:46656
	v_add_u32_e32 v9, s3, v9
	v_accvgpr_write_b32 a46, v12
	v_accvgpr_write_b32 a45, v11
	;; [unrolled: 1-line block ×3, first 2 shown]
	global_load_dwordx4 v[0:3], v[8:9], off
	global_load_dwordx4 v[12:15], v120, s[4:5] offset:3888
	s_mov_b64 s[4:5], 0x3cc
	v_lshl_add_u64 v[82:83], v[78:79], 0, s[4:5]
	v_mad_u64_u32 v[8:9], s[4:5], s8, v126, v[8:9]
	s_movk_i32 s4, 0x3000
	v_add_u32_e32 v9, s2, v9
	v_mov_b32_e32 v10, 0xffff58f0
	s_mov_b32 s10, 0x372fe950
	s_mov_b32 s11, 0x3fd3c6ef
	s_waitcnt vmcnt(0)
	v_mul_f64 v[4:5], v[2:3], v[14:15]
	v_fmac_f64_e32 v[4:5], v[0:1], v[12:13]
	v_mul_f64 v[0:1], v[0:1], v[14:15]
	v_fma_f64 v[6:7], v[2:3], v[12:13], -v[0:1]
	ds_write_b128 v120, v[4:7] offset:3888
	v_add_co_u32_e32 v4, vcc, s4, v76
	v_accvgpr_write_b32 a8, v12
	s_nop 0
	v_addc_co_u32_e32 v5, vcc, 0, v77, vcc
	v_accvgpr_write_b32 a9, v13
	v_accvgpr_write_b32 a10, v14
	;; [unrolled: 1-line block ×3, first 2 shown]
	global_load_dwordx4 v[0:3], v[8:9], off
	global_load_dwordx4 v[12:15], v[4:5], off offset:3264
	v_mad_u64_u32 v[8:9], s[4:5], s8, v126, v[8:9]
	s_movk_i32 s4, 0x6000
	v_add_u32_e32 v9, s2, v9
	s_waitcnt vmcnt(0)
	v_mul_f64 v[4:5], v[2:3], v[14:15]
	v_fmac_f64_e32 v[4:5], v[0:1], v[12:13]
	v_mul_f64 v[0:1], v[0:1], v[14:15]
	v_fma_f64 v[6:7], v[2:3], v[12:13], -v[0:1]
	ds_write_b128 v120, v[4:7] offset:15552
	v_add_co_u32_e32 v4, vcc, s4, v76
	v_accvgpr_write_b32 a31, v15
	s_nop 0
	v_addc_co_u32_e32 v5, vcc, 0, v77, vcc
	v_accvgpr_write_b32 a30, v14
	v_accvgpr_write_b32 a29, v13
	;; [unrolled: 1-line block ×3, first 2 shown]
	global_load_dwordx4 v[0:3], v[8:9], off
	global_load_dwordx4 v[12:15], v[4:5], off offset:2640
	v_mad_u64_u32 v[8:9], s[4:5], s8, v126, v[8:9]
	s_mov_b32 s4, 0x9000
	v_add_u32_e32 v9, s2, v9
	s_waitcnt vmcnt(0)
	v_mul_f64 v[4:5], v[2:3], v[14:15]
	v_fmac_f64_e32 v[4:5], v[0:1], v[12:13]
	v_mul_f64 v[0:1], v[0:1], v[14:15]
	v_fma_f64 v[6:7], v[2:3], v[12:13], -v[0:1]
	ds_write_b128 v120, v[4:7] offset:27216
	v_add_co_u32_e32 v4, vcc, s4, v76
	v_accvgpr_write_b32 a55, v15
	s_nop 0
	v_addc_co_u32_e32 v5, vcc, 0, v77, vcc
	v_accvgpr_write_b32 a54, v14
	v_accvgpr_write_b32 a53, v13
	;; [unrolled: 1-line block ×3, first 2 shown]
	global_load_dwordx4 v[0:3], v[8:9], off
	global_load_dwordx4 v[12:15], v[4:5], off offset:2016
	v_mad_u64_u32 v[8:9], s[4:5], s8, v126, v[8:9]
	s_mov_b32 s4, 0xc000
	v_add_u32_e32 v9, s2, v9
	s_waitcnt vmcnt(0)
	v_mul_f64 v[4:5], v[2:3], v[14:15]
	v_fmac_f64_e32 v[4:5], v[0:1], v[12:13]
	v_mul_f64 v[0:1], v[0:1], v[14:15]
	v_fma_f64 v[6:7], v[2:3], v[12:13], -v[0:1]
	ds_write_b128 v120, v[4:7] offset:38880
	v_add_co_u32_e32 v4, vcc, s4, v76
	v_accvgpr_write_b32 a59, v15
	s_nop 0
	v_addc_co_u32_e32 v5, vcc, 0, v77, vcc
	v_accvgpr_write_b32 a58, v14
	v_accvgpr_write_b32 a57, v13
	v_accvgpr_write_b32 a56, v12
	global_load_dwordx4 v[0:3], v[8:9], off
	global_load_dwordx4 v[12:15], v[4:5], off offset:1392
	s_mov_b64 s[4:5], 0x1e6
	v_lshl_add_u64 v[86:87], v[78:79], 0, s[4:5]
	v_mad_u64_u32 v[8:9], s[4:5], s8, v10, v[8:9]
	v_add_u32_e32 v9, s3, v9
	s_movk_i32 s3, 0x7000
	s_waitcnt vmcnt(0)
	v_mul_f64 v[4:5], v[2:3], v[14:15]
	v_fmac_f64_e32 v[4:5], v[0:1], v[12:13]
	v_mul_f64 v[0:1], v[0:1], v[14:15]
	v_fma_f64 v[6:7], v[2:3], v[12:13], -v[0:1]
	ds_write_b128 v120, v[4:7] offset:50544
	v_add_co_u32_e32 v4, vcc, s22, v76
	v_accvgpr_write_b32 a63, v15
	s_nop 0
	v_addc_co_u32_e32 v5, vcc, 0, v77, vcc
	v_accvgpr_write_b32 a62, v14
	v_accvgpr_write_b32 a61, v13
	;; [unrolled: 1-line block ×3, first 2 shown]
	global_load_dwordx4 v[0:3], v[8:9], off
	global_load_dwordx4 v[10:13], v[4:5], off offset:3680
	v_mad_u64_u32 v[8:9], s[4:5], s8, v126, v[8:9]
	v_add_u32_e32 v9, s2, v9
	s_waitcnt vmcnt(0)
	v_mul_f64 v[4:5], v[2:3], v[12:13]
	v_fmac_f64_e32 v[4:5], v[0:1], v[10:11]
	v_mul_f64 v[0:1], v[0:1], v[12:13]
	v_fma_f64 v[6:7], v[2:3], v[10:11], -v[0:1]
	ds_write_b128 v120, v[4:7] offset:7776
	v_add_co_u32_e32 v4, vcc, s20, v76
	v_accvgpr_write_b32 a35, v13
	s_nop 0
	v_addc_co_u32_e32 v5, vcc, 0, v77, vcc
	v_accvgpr_write_b32 a34, v12
	v_accvgpr_write_b32 a33, v11
	;; [unrolled: 1-line block ×3, first 2 shown]
	global_load_dwordx4 v[0:3], v[8:9], off
	global_load_dwordx4 v[10:13], v[4:5], off offset:3056
	v_mad_u64_u32 v[8:9], s[4:5], s8, v126, v[8:9]
	v_add_u32_e32 v9, s2, v9
	s_waitcnt vmcnt(0)
	v_mul_f64 v[4:5], v[2:3], v[12:13]
	v_fmac_f64_e32 v[4:5], v[0:1], v[10:11]
	v_mul_f64 v[0:1], v[0:1], v[12:13]
	v_fma_f64 v[6:7], v[2:3], v[10:11], -v[0:1]
	ds_write_b128 v120, v[4:7] offset:19440
	v_add_co_u32_e32 v4, vcc, s3, v76
	v_accvgpr_write_b32 a43, v13
	s_nop 0
	v_addc_co_u32_e32 v5, vcc, 0, v77, vcc
	v_accvgpr_write_b32 a42, v12
	v_accvgpr_write_b32 a41, v11
	;; [unrolled: 1-line block ×3, first 2 shown]
	global_load_dwordx4 v[0:3], v[8:9], off
	global_load_dwordx4 v[10:13], v[4:5], off offset:2432
	s_mov_b32 s3, 0xa000
	v_mad_u64_u32 v[8:9], s[4:5], s8, v126, v[8:9]
	v_add_u32_e32 v9, s2, v9
	s_waitcnt vmcnt(0)
	v_mul_f64 v[4:5], v[2:3], v[12:13]
	v_fmac_f64_e32 v[4:5], v[0:1], v[10:11]
	v_mul_f64 v[0:1], v[0:1], v[12:13]
	v_fma_f64 v[6:7], v[2:3], v[10:11], -v[0:1]
	ds_write_b128 v120, v[4:7] offset:31104
	v_add_co_u32_e32 v4, vcc, s3, v76
	v_accvgpr_write_b32 a51, v13
	s_nop 0
	v_addc_co_u32_e32 v5, vcc, 0, v77, vcc
	v_accvgpr_write_b32 a50, v12
	v_accvgpr_write_b32 a49, v11
	;; [unrolled: 1-line block ×3, first 2 shown]
	global_load_dwordx4 v[0:3], v[8:9], off
	global_load_dwordx4 v[10:13], v[4:5], off offset:1808
	s_waitcnt vmcnt(0)
	v_mul_f64 v[4:5], v[2:3], v[12:13]
	v_fmac_f64_e32 v[4:5], v[0:1], v[10:11]
	v_mul_f64 v[0:1], v[0:1], v[12:13]
	v_fma_f64 v[6:7], v[2:3], v[10:11], -v[0:1]
	v_mad_u64_u32 v[0:1], s[4:5], s8, v126, v[8:9]
	v_add_u32_e32 v1, s2, v1
	s_mov_b32 s2, 0xd000
	ds_write_b128 v120, v[4:7] offset:42768
	v_add_co_u32_e32 v4, vcc, s2, v76
	global_load_dwordx4 v[0:3], v[0:1], off
	s_nop 0
	v_addc_co_u32_e32 v5, vcc, 0, v77, vcc
	global_load_dwordx4 v[4:7], v[4:5], off offset:1184
	v_accvgpr_write_b32 a23, v13
	v_accvgpr_write_b32 a22, v12
	;; [unrolled: 1-line block ×4, first 2 shown]
	s_mov_b32 s8, 0x134454ff
	s_mov_b32 s9, 0x3fee6f0e
	;; [unrolled: 1-line block ×3, first 2 shown]
	s_movk_i32 s2, 0xcd
	s_mov_b32 s5, 0xbfebb67a
	s_waitcnt vmcnt(0)
	v_mov_b64_e32 v[8:9], v[6:7]
	v_mov_b64_e32 v[6:7], v[4:5]
	v_mul_f64 v[4:5], v[2:3], v[8:9]
	v_fmac_f64_e32 v[4:5], v[0:1], v[6:7]
	v_mul_f64 v[0:1], v[0:1], v[8:9]
	v_mov_b64_e32 v[10:11], v[8:9]
	v_mov_b64_e32 v[8:9], v[6:7]
	v_fma_f64 v[6:7], v[2:3], v[8:9], -v[0:1]
	v_accvgpr_write_b32 a27, v11
	v_accvgpr_write_b32 a26, v10
	;; [unrolled: 1-line block ×4, first 2 shown]
	ds_write_b128 v120, v[4:7] offset:54432
	s_waitcnt lgkmcnt(0)
	s_barrier
	ds_read_b128 v[0:3], v120
	ds_read_b128 v[60:63], v120 offset:11664
	ds_read_b128 v[64:67], v120 offset:23328
	;; [unrolled: 1-line block ×14, first 2 shown]
	s_waitcnt lgkmcnt(13)
	v_add_f64 v[16:17], v[0:1], v[60:61]
	s_waitcnt lgkmcnt(12)
	v_add_f64 v[16:17], v[16:17], v[64:65]
	;; [unrolled: 2-line block ×4, first 2 shown]
	v_add_f64 v[16:17], v[64:65], v[68:69]
	v_fma_f64 v[16:17], -0.5, v[16:17], v[0:1]
	v_add_f64 v[18:19], v[62:63], -v[74:75]
	v_fma_f64 v[32:33], s[8:9], v[18:19], v[16:17]
	v_add_f64 v[30:31], v[66:67], -v[70:71]
	v_add_f64 v[34:35], v[60:61], -v[64:65]
	;; [unrolled: 1-line block ×3, first 2 shown]
	v_fmac_f64_e32 v[16:17], s[16:17], v[18:19]
	v_fmac_f64_e32 v[32:33], s[14:15], v[30:31]
	v_add_f64 v[34:35], v[34:35], v[48:49]
	v_fmac_f64_e32 v[16:17], s[12:13], v[30:31]
	v_fmac_f64_e32 v[32:33], s[10:11], v[34:35]
	;; [unrolled: 1-line block ×3, first 2 shown]
	v_add_f64 v[34:35], v[60:61], v[72:73]
	v_fmac_f64_e32 v[0:1], -0.5, v[34:35]
	v_fma_f64 v[48:49], s[16:17], v[30:31], v[0:1]
	v_fmac_f64_e32 v[0:1], s[8:9], v[30:31]
	v_fmac_f64_e32 v[48:49], s[14:15], v[18:19]
	;; [unrolled: 1-line block ×3, first 2 shown]
	v_add_f64 v[18:19], v[2:3], v[62:63]
	v_add_f64 v[18:19], v[18:19], v[66:67]
	;; [unrolled: 1-line block ×3, first 2 shown]
	v_add_f64 v[34:35], v[64:65], -v[60:61]
	v_add_f64 v[50:51], v[68:69], -v[72:73]
	v_add_f64 v[30:31], v[18:19], v[74:75]
	v_add_f64 v[18:19], v[66:67], v[70:71]
	v_add_f64 v[34:35], v[34:35], v[50:51]
	v_fma_f64 v[18:19], -0.5, v[18:19], v[2:3]
	v_add_f64 v[60:61], v[60:61], -v[72:73]
	v_fmac_f64_e32 v[48:49], s[10:11], v[34:35]
	v_fmac_f64_e32 v[0:1], s[10:11], v[34:35]
	v_fma_f64 v[34:35], s[16:17], v[60:61], v[18:19]
	v_add_f64 v[64:65], v[64:65], -v[68:69]
	v_add_f64 v[50:51], v[62:63], -v[66:67]
	v_add_f64 v[68:69], v[74:75], -v[70:71]
	v_fmac_f64_e32 v[18:19], s[8:9], v[60:61]
	v_fmac_f64_e32 v[34:35], s[12:13], v[64:65]
	v_add_f64 v[50:51], v[50:51], v[68:69]
	v_fmac_f64_e32 v[18:19], s[14:15], v[64:65]
	v_fmac_f64_e32 v[34:35], s[10:11], v[50:51]
	;; [unrolled: 1-line block ×3, first 2 shown]
	v_add_f64 v[50:51], v[62:63], v[74:75]
	v_fmac_f64_e32 v[2:3], -0.5, v[50:51]
	v_fma_f64 v[50:51], s[8:9], v[64:65], v[2:3]
	v_add_f64 v[62:63], v[66:67], -v[62:63]
	v_add_f64 v[66:67], v[70:71], -v[74:75]
	v_fmac_f64_e32 v[2:3], s[16:17], v[64:65]
	v_fmac_f64_e32 v[50:51], s[12:13], v[60:61]
	v_add_f64 v[62:63], v[62:63], v[66:67]
	v_fmac_f64_e32 v[2:3], s[14:15], v[60:61]
	v_fmac_f64_e32 v[50:51], s[10:11], v[62:63]
	;; [unrolled: 1-line block ×3, first 2 shown]
	s_waitcnt lgkmcnt(6)
	v_add_f64 v[62:63], v[44:45], v[52:53]
	v_fma_f64 v[64:65], -0.5, v[62:63], v[4:5]
	s_waitcnt lgkmcnt(5)
	v_add_f64 v[62:63], v[42:43], -v[58:59]
	v_fma_f64 v[68:69], s[8:9], v[62:63], v[64:65]
	v_add_f64 v[66:67], v[46:47], -v[54:55]
	v_add_f64 v[70:71], v[40:41], -v[44:45]
	;; [unrolled: 1-line block ×3, first 2 shown]
	v_fmac_f64_e32 v[64:65], s[16:17], v[62:63]
	v_fmac_f64_e32 v[68:69], s[14:15], v[66:67]
	v_add_f64 v[70:71], v[70:71], v[72:73]
	v_fmac_f64_e32 v[64:65], s[12:13], v[66:67]
	v_fmac_f64_e32 v[68:69], s[10:11], v[70:71]
	;; [unrolled: 1-line block ×3, first 2 shown]
	v_add_f64 v[70:71], v[40:41], v[56:57]
	v_add_f64 v[60:61], v[4:5], v[40:41]
	v_fmac_f64_e32 v[4:5], -0.5, v[70:71]
	v_add_f64 v[60:61], v[60:61], v[44:45]
	v_fma_f64 v[72:73], s[16:17], v[66:67], v[4:5]
	v_add_f64 v[70:71], v[44:45], -v[40:41]
	v_add_f64 v[74:75], v[52:53], -v[56:57]
	v_fmac_f64_e32 v[4:5], s[8:9], v[66:67]
	v_add_f64 v[66:67], v[46:47], v[54:55]
	v_add_f64 v[60:61], v[60:61], v[52:53]
	v_fmac_f64_e32 v[72:73], s[14:15], v[62:63]
	v_add_f64 v[70:71], v[70:71], v[74:75]
	v_fmac_f64_e32 v[4:5], s[12:13], v[62:63]
	v_fma_f64 v[66:67], -0.5, v[66:67], v[6:7]
	v_add_f64 v[40:41], v[40:41], -v[56:57]
	v_add_f64 v[60:61], v[60:61], v[56:57]
	v_fmac_f64_e32 v[72:73], s[10:11], v[70:71]
	v_fmac_f64_e32 v[4:5], s[10:11], v[70:71]
	v_fma_f64 v[70:71], s[16:17], v[40:41], v[66:67]
	v_add_f64 v[44:45], v[44:45], -v[52:53]
	v_add_f64 v[52:53], v[42:43], -v[46:47]
	;; [unrolled: 1-line block ×3, first 2 shown]
	v_fmac_f64_e32 v[66:67], s[8:9], v[40:41]
	v_fmac_f64_e32 v[70:71], s[12:13], v[44:45]
	v_add_f64 v[52:53], v[52:53], v[56:57]
	v_fmac_f64_e32 v[66:67], s[14:15], v[44:45]
	v_fmac_f64_e32 v[70:71], s[10:11], v[52:53]
	;; [unrolled: 1-line block ×3, first 2 shown]
	v_add_f64 v[52:53], v[42:43], v[58:59]
	v_add_f64 v[62:63], v[6:7], v[42:43]
	v_fmac_f64_e32 v[6:7], -0.5, v[52:53]
	v_add_f64 v[62:63], v[62:63], v[46:47]
	v_fma_f64 v[74:75], s[8:9], v[44:45], v[6:7]
	v_add_f64 v[42:43], v[46:47], -v[42:43]
	v_add_f64 v[46:47], v[54:55], -v[58:59]
	v_fmac_f64_e32 v[6:7], s[16:17], v[44:45]
	v_fmac_f64_e32 v[74:75], s[12:13], v[40:41]
	v_add_f64 v[42:43], v[42:43], v[46:47]
	v_fmac_f64_e32 v[6:7], s[14:15], v[40:41]
	v_fmac_f64_e32 v[74:75], s[10:11], v[42:43]
	;; [unrolled: 1-line block ×3, first 2 shown]
	s_waitcnt lgkmcnt(1)
	v_add_f64 v[42:43], v[20:21], v[24:25]
	v_fma_f64 v[44:45], -0.5, v[42:43], v[8:9]
	s_waitcnt lgkmcnt(0)
	v_add_f64 v[42:43], v[14:15], -v[38:39]
	v_add_f64 v[62:63], v[62:63], v[54:55]
	v_fma_f64 v[52:53], s[8:9], v[42:43], v[44:45]
	v_add_f64 v[46:47], v[22:23], -v[26:27]
	v_add_f64 v[54:55], v[12:13], -v[20:21]
	;; [unrolled: 1-line block ×3, first 2 shown]
	v_fmac_f64_e32 v[44:45], s[16:17], v[42:43]
	v_fmac_f64_e32 v[52:53], s[14:15], v[46:47]
	v_add_f64 v[54:55], v[54:55], v[56:57]
	v_fmac_f64_e32 v[44:45], s[12:13], v[46:47]
	v_fmac_f64_e32 v[52:53], s[10:11], v[54:55]
	;; [unrolled: 1-line block ×3, first 2 shown]
	v_add_f64 v[54:55], v[12:13], v[36:37]
	v_add_f64 v[40:41], v[8:9], v[12:13]
	v_fmac_f64_e32 v[8:9], -0.5, v[54:55]
	v_add_f64 v[62:63], v[62:63], v[58:59]
	v_add_f64 v[40:41], v[40:41], v[20:21]
	v_fma_f64 v[56:57], s[16:17], v[46:47], v[8:9]
	v_add_f64 v[54:55], v[20:21], -v[12:13]
	v_add_f64 v[58:59], v[24:25], -v[36:37]
	v_fmac_f64_e32 v[8:9], s[8:9], v[46:47]
	v_add_f64 v[46:47], v[22:23], v[26:27]
	v_add_f64 v[40:41], v[40:41], v[24:25]
	v_fmac_f64_e32 v[56:57], s[14:15], v[42:43]
	v_add_f64 v[54:55], v[54:55], v[58:59]
	v_fmac_f64_e32 v[8:9], s[12:13], v[42:43]
	v_fma_f64 v[46:47], -0.5, v[46:47], v[10:11]
	v_add_f64 v[12:13], v[12:13], -v[36:37]
	v_add_f64 v[40:41], v[40:41], v[36:37]
	v_fmac_f64_e32 v[56:57], s[10:11], v[54:55]
	v_fmac_f64_e32 v[8:9], s[10:11], v[54:55]
	v_fma_f64 v[54:55], s[16:17], v[12:13], v[46:47]
	v_add_f64 v[20:21], v[20:21], -v[24:25]
	v_add_f64 v[24:25], v[14:15], -v[22:23]
	;; [unrolled: 1-line block ×3, first 2 shown]
	v_fmac_f64_e32 v[46:47], s[8:9], v[12:13]
	v_fmac_f64_e32 v[54:55], s[12:13], v[20:21]
	v_add_f64 v[24:25], v[24:25], v[36:37]
	v_fmac_f64_e32 v[46:47], s[14:15], v[20:21]
	v_fmac_f64_e32 v[54:55], s[10:11], v[24:25]
	;; [unrolled: 1-line block ×3, first 2 shown]
	v_add_f64 v[24:25], v[14:15], v[38:39]
	v_add_f64 v[42:43], v[10:11], v[14:15]
	v_fmac_f64_e32 v[10:11], -0.5, v[24:25]
	v_fma_f64 v[58:59], s[8:9], v[20:21], v[10:11]
	v_fmac_f64_e32 v[10:11], s[16:17], v[20:21]
	v_fmac_f64_e32 v[58:59], s[12:13], v[12:13]
	;; [unrolled: 1-line block ×3, first 2 shown]
	v_mul_lo_u16_e32 v12, 5, v78
	v_lshlrev_b32_e32 v127, 4, v12
	s_barrier
	ds_write_b128 v127, v[28:31]
	ds_write_b128 v127, v[32:35] offset:16
	ds_write_b128 v127, v[48:51] offset:32
	ds_write_b128 v127, v[0:3] offset:48
	ds_write_b128 v127, v[16:19] offset:64
	v_mul_u32_u24_e32 v0, 5, v84
	v_lshlrev_b32_e32 v0, 4, v0
	v_mul_lo_u16_sdwa v48, v78, s2 dst_sel:DWORD dst_unused:UNUSED_PAD src0_sel:BYTE_0 src1_sel:DWORD
	ds_write_b128 v0, v[60:63]
	ds_write_b128 v0, v[68:71] offset:16
	ds_write_b128 v0, v[72:75] offset:32
	;; [unrolled: 1-line block ×4, first 2 shown]
	v_lshrrev_b16_e32 v62, 10, v48
	v_mul_lo_u16_e32 v48, 5, v62
	v_add_f64 v[42:43], v[42:43], v[22:23]
	v_add_f64 v[14:15], v[22:23], -v[14:15]
	v_add_f64 v[22:23], v[26:27], -v[38:39]
	v_sub_u16_e32 v48, v78, v48
	v_add_f64 v[42:43], v[42:43], v[26:27]
	v_add_f64 v[14:15], v[14:15], v[22:23]
	v_accvgpr_write_b32 a138, v0
	v_mul_u32_u24_e32 v0, 5, v86
	v_and_b32_e32 v63, 0xff, v48
	v_add_f64 v[42:43], v[42:43], v[38:39]
	v_fmac_f64_e32 v[58:59], s[10:11], v[14:15]
	v_fmac_f64_e32 v[10:11], s[10:11], v[14:15]
	v_lshlrev_b32_e32 v0, 4, v0
	v_lshlrev_b32_e32 v48, 5, v63
	ds_write_b128 v0, v[40:43]
	ds_write_b128 v0, v[52:55] offset:16
	ds_write_b128 v0, v[56:59] offset:32
	;; [unrolled: 1-line block ×4, first 2 shown]
	v_accvgpr_write_b32 a92, v0
	s_waitcnt lgkmcnt(0)
	s_barrier
	ds_read_b128 v[16:19], v120
	ds_read_b128 v[50:53], v120 offset:19440
	ds_read_b128 v[54:57], v120 offset:38880
	;; [unrolled: 1-line block ×14, first 2 shown]
	global_load_dwordx4 v[64:67], v48, s[6:7] offset:16
	global_load_dwordx4 v[68:71], v48, s[6:7]
	s_mov_b32 s2, 0xcccd
	s_waitcnt vmcnt(1)
	v_accvgpr_write_b32 a97, v67
	s_waitcnt vmcnt(0) lgkmcnt(13)
	v_mul_f64 v[48:49], v[52:53], v[70:71]
	v_fma_f64 v[48:49], v[50:51], v[68:69], -v[48:49]
	v_mul_f64 v[50:51], v[50:51], v[70:71]
	v_fmac_f64_e32 v[50:51], v[52:53], v[68:69]
	s_waitcnt lgkmcnt(12)
	v_mul_f64 v[52:53], v[56:57], v[66:67]
	v_fma_f64 v[52:53], v[54:55], v[64:65], -v[52:53]
	v_mul_f64 v[54:55], v[54:55], v[66:67]
	v_fmac_f64_e32 v[54:55], v[56:57], v[64:65]
	v_mul_u32_u24_sdwa v56, v84, s2 dst_sel:DWORD dst_unused:UNUSED_PAD src0_sel:WORD_0 src1_sel:DWORD
	v_accvgpr_write_b32 a96, v66
	v_accvgpr_write_b32 a95, v65
	;; [unrolled: 1-line block ×3, first 2 shown]
	v_lshrrev_b32_e32 v64, 18, v56
	v_mul_lo_u16_e32 v56, 5, v64
	v_sub_u16_e32 v65, v84, v56
	v_lshlrev_b16_e32 v56, 1, v65
	v_accvgpr_write_b32 a105, v71
	v_lshlrev_b32_e32 v56, 4, v56
	v_accvgpr_write_b32 a104, v70
	v_accvgpr_write_b32 a103, v69
	;; [unrolled: 1-line block ×3, first 2 shown]
	global_load_dwordx4 v[66:69], v56, s[6:7] offset:16
	global_load_dwordx4 v[70:73], v56, s[6:7]
	s_waitcnt vmcnt(1)
	v_accvgpr_write_b32 a123, v69
	s_waitcnt vmcnt(0) lgkmcnt(10)
	v_mul_f64 v[56:57], v[60:61], v[72:73]
	v_fma_f64 v[56:57], v[58:59], v[70:71], -v[56:57]
	v_mul_f64 v[58:59], v[58:59], v[72:73]
	v_fmac_f64_e32 v[58:59], v[60:61], v[70:71]
	s_waitcnt lgkmcnt(9)
	v_mul_f64 v[60:61], v[46:47], v[68:69]
	v_fma_f64 v[60:61], v[44:45], v[66:67], -v[60:61]
	v_mul_f64 v[44:45], v[44:45], v[68:69]
	v_fmac_f64_e32 v[44:45], v[46:47], v[66:67]
	v_mul_u32_u24_sdwa v46, v86, s2 dst_sel:DWORD dst_unused:UNUSED_PAD src0_sel:WORD_0 src1_sel:DWORD
	v_lshrrev_b32_e32 v81, 18, v46
	v_mul_lo_u16_e32 v46, 5, v81
	v_sub_u16_e32 v83, v86, v46
	v_lshlrev_b16_e32 v46, 1, v83
	v_lshlrev_b32_e32 v46, 4, v46
	global_load_dwordx4 v[132:135], v46, s[6:7] offset:16
	global_load_dwordx4 v[140:143], v46, s[6:7]
	v_accvgpr_write_b32 a127, v73
	v_accvgpr_write_b32 a126, v72
	;; [unrolled: 1-line block ×7, first 2 shown]
	s_waitcnt vmcnt(0) lgkmcnt(7)
	v_mul_f64 v[46:47], v[42:43], v[142:143]
	v_fma_f64 v[46:47], v[40:41], v[140:141], -v[46:47]
	v_mul_f64 v[40:41], v[40:41], v[142:143]
	v_fmac_f64_e32 v[40:41], v[42:43], v[140:141]
	s_waitcnt lgkmcnt(6)
	v_mul_f64 v[42:43], v[38:39], v[134:135]
	v_fma_f64 v[42:43], v[36:37], v[132:133], -v[42:43]
	v_mul_f64 v[36:37], v[36:37], v[134:135]
	v_fmac_f64_e32 v[36:37], v[38:39], v[132:133]
	v_mul_u32_u24_sdwa v38, v80, s2 dst_sel:DWORD dst_unused:UNUSED_PAD src0_sel:WORD_0 src1_sel:DWORD
	v_lshrrev_b32_e32 v87, 18, v38
	v_mul_lo_u16_e32 v38, 5, v87
	v_sub_u16_e32 v88, v80, v38
	v_lshlrev_b16_e32 v38, 1, v88
	v_lshlrev_b32_e32 v38, 4, v38
	global_load_dwordx4 v[148:151], v38, s[6:7] offset:16
	global_load_dwordx4 v[156:159], v38, s[6:7]
	s_waitcnt vmcnt(0) lgkmcnt(4)
	v_mul_f64 v[38:39], v[34:35], v[158:159]
	v_fma_f64 v[38:39], v[32:33], v[156:157], -v[38:39]
	v_mul_f64 v[32:33], v[32:33], v[158:159]
	v_fmac_f64_e32 v[32:33], v[34:35], v[156:157]
	s_waitcnt lgkmcnt(3)
	v_mul_f64 v[34:35], v[30:31], v[150:151]
	v_fma_f64 v[34:35], v[28:29], v[148:149], -v[34:35]
	v_mul_f64 v[28:29], v[28:29], v[150:151]
	v_fmac_f64_e32 v[28:29], v[30:31], v[148:149]
	v_mul_u32_u24_sdwa v30, v82, s2 dst_sel:DWORD dst_unused:UNUSED_PAD src0_sel:WORD_0 src1_sel:DWORD
	v_lshrrev_b32_e32 v89, 18, v30
	v_mul_lo_u16_e32 v30, 5, v89
	v_sub_u16_e32 v90, v82, v30
	v_lshlrev_b16_e32 v30, 1, v90
	v_lshlrev_b32_e32 v30, 4, v30
	global_load_dwordx4 v[164:167], v30, s[6:7] offset:16
	global_load_dwordx4 v[172:175], v30, s[6:7]
	s_mov_b32 s2, 0xe8584caa
	s_mov_b32 s3, 0x3febb67a
	;; [unrolled: 1-line block ×3, first 2 shown]
	s_waitcnt lgkmcnt(0)
	s_barrier
	s_waitcnt vmcnt(1)
	v_mul_f64 v[74:75], v[20:21], v[166:167]
	s_waitcnt vmcnt(0)
	v_mul_f64 v[30:31], v[26:27], v[174:175]
	v_fma_f64 v[68:69], v[24:25], v[172:173], -v[30:31]
	v_mul_f64 v[70:71], v[24:25], v[174:175]
	v_mul_f64 v[24:25], v[22:23], v[166:167]
	v_fmac_f64_e32 v[74:75], v[22:23], v[164:165]
	v_add_f64 v[22:23], v[48:49], v[52:53]
	v_fmac_f64_e32 v[70:71], v[26:27], v[172:173]
	v_fma_f64 v[72:73], v[20:21], v[164:165], -v[24:25]
	v_add_f64 v[20:21], v[16:17], v[48:49]
	v_fmac_f64_e32 v[16:17], -0.5, v[22:23]
	v_add_f64 v[22:23], v[50:51], -v[54:55]
	v_add_f64 v[26:27], v[50:51], v[54:55]
	v_fma_f64 v[24:25], s[2:3], v[22:23], v[16:17]
	v_fmac_f64_e32 v[16:17], s[4:5], v[22:23]
	v_add_f64 v[22:23], v[18:19], v[50:51]
	v_fmac_f64_e32 v[18:19], -0.5, v[26:27]
	v_add_f64 v[30:31], v[48:49], -v[52:53]
	v_fma_f64 v[26:27], s[4:5], v[30:31], v[18:19]
	v_fmac_f64_e32 v[18:19], s[2:3], v[30:31]
	v_add_f64 v[30:31], v[12:13], v[56:57]
	v_add_f64 v[48:49], v[30:31], v[60:61]
	v_add_f64 v[30:31], v[56:57], v[60:61]
	v_fmac_f64_e32 v[12:13], -0.5, v[30:31]
	v_add_f64 v[30:31], v[58:59], -v[44:45]
	v_add_f64 v[20:21], v[20:21], v[52:53]
	v_fma_f64 v[52:53], s[2:3], v[30:31], v[12:13]
	v_fmac_f64_e32 v[12:13], s[4:5], v[30:31]
	v_add_f64 v[30:31], v[14:15], v[58:59]
	v_add_f64 v[50:51], v[30:31], v[44:45]
	;; [unrolled: 1-line block ×3, first 2 shown]
	v_fmac_f64_e32 v[14:15], -0.5, v[30:31]
	v_add_f64 v[30:31], v[56:57], -v[60:61]
	v_add_f64 v[22:23], v[22:23], v[54:55]
	v_fma_f64 v[54:55], s[4:5], v[30:31], v[14:15]
	v_fmac_f64_e32 v[14:15], s[2:3], v[30:31]
	v_add_f64 v[30:31], v[8:9], v[46:47]
	v_add_f64 v[56:57], v[30:31], v[42:43]
	v_add_f64 v[30:31], v[46:47], v[42:43]
	v_fmac_f64_e32 v[8:9], -0.5, v[30:31]
	v_add_f64 v[30:31], v[40:41], -v[36:37]
	v_fma_f64 v[44:45], s[2:3], v[30:31], v[8:9]
	v_fmac_f64_e32 v[8:9], s[4:5], v[30:31]
	v_add_f64 v[30:31], v[10:11], v[40:41]
	v_add_f64 v[58:59], v[30:31], v[36:37]
	v_add_f64 v[30:31], v[40:41], v[36:37]
	v_fmac_f64_e32 v[10:11], -0.5, v[30:31]
	v_add_f64 v[30:31], v[46:47], -v[42:43]
	;; [unrolled: 7-line block ×6, first 2 shown]
	v_fma_f64 v[68:69], s[4:5], v[28:29], v[2:3]
	v_fmac_f64_e32 v[2:3], s[2:3], v[28:29]
	v_mul_u32_u24_e32 v28, 15, v62
	v_add_lshl_u32 v28, v28, v63, 4
	ds_write_b128 v28, v[20:23]
	ds_write_b128 v28, v[24:27] offset:80
	ds_write_b128 v28, v[16:19] offset:160
	v_mad_legacy_u16 v16, v64, 15, v65
	v_lshlrev_b32_e32 v16, 4, v16
	ds_write_b128 v16, v[48:51]
	ds_write_b128 v16, v[52:55] offset:80
	ds_write_b128 v16, v[12:15] offset:160
	v_mad_legacy_u16 v12, v81, 15, v83
	v_mul_lo_u16_sdwa v48, v78, s18 dst_sel:DWORD dst_unused:UNUSED_PAD src0_sel:BYTE_0 src1_sel:DWORD
	v_lshlrev_b32_e32 v12, 4, v12
	v_lshrrev_b16_e32 v64, 11, v48
	ds_write_b128 v12, v[56:59]
	ds_write_b128 v12, v[44:47] offset:80
	ds_write_b128 v12, v[8:11] offset:160
	v_mad_legacy_u16 v8, v87, 15, v88
	v_mul_lo_u16_e32 v48, 15, v64
	v_lshlrev_b32_e32 v8, 4, v8
	v_sub_u16_e32 v48, v78, v48
	ds_write_b128 v8, v[40:43]
	ds_write_b128 v8, v[30:33] offset:80
	ds_write_b128 v8, v[4:7] offset:160
	v_mad_legacy_u16 v4, v89, 15, v90
	v_and_b32_e32 v65, 0xff, v48
	v_lshlrev_b32_e32 v4, 4, v4
	v_lshlrev_b32_e32 v48, 5, v65
	v_accvgpr_write_b32 a139, v28
	v_accvgpr_write_b32 a137, v16
	;; [unrolled: 1-line block ×4, first 2 shown]
	ds_write_b128 v4, v[34:37]
	ds_write_b128 v4, v[66:69] offset:80
	ds_write_b128 v4, v[0:3] offset:160
	v_accvgpr_write_b32 a74, v4
	s_waitcnt lgkmcnt(0)
	s_barrier
	ds_read_b128 v[16:19], v120
	ds_read_b128 v[50:53], v120 offset:19440
	ds_read_b128 v[54:57], v120 offset:38880
	;; [unrolled: 1-line block ×14, first 2 shown]
	global_load_dwordx4 v[66:69], v48, s[6:7] offset:176
	global_load_dwordx4 v[70:73], v48, s[6:7] offset:160
	s_mov_b32 s18, 0x8889
	s_waitcnt vmcnt(1)
	v_accvgpr_write_b32 a83, v69
	s_waitcnt vmcnt(0) lgkmcnt(13)
	v_mul_f64 v[48:49], v[52:53], v[72:73]
	v_fma_f64 v[48:49], v[50:51], v[70:71], -v[48:49]
	v_mul_f64 v[50:51], v[50:51], v[72:73]
	v_fmac_f64_e32 v[50:51], v[52:53], v[70:71]
	s_waitcnt lgkmcnt(12)
	v_mul_f64 v[52:53], v[56:57], v[68:69]
	v_fma_f64 v[52:53], v[54:55], v[66:67], -v[52:53]
	v_mul_f64 v[54:55], v[54:55], v[68:69]
	v_fmac_f64_e32 v[54:55], v[56:57], v[66:67]
	v_mul_u32_u24_sdwa v56, v84, s18 dst_sel:DWORD dst_unused:UNUSED_PAD src0_sel:WORD_0 src1_sel:DWORD
	v_accvgpr_write_b32 a82, v68
	v_accvgpr_write_b32 a81, v67
	;; [unrolled: 1-line block ×3, first 2 shown]
	v_lshrrev_b32_e32 v66, 19, v56
	v_mul_lo_u16_e32 v56, 15, v66
	v_sub_u16_e32 v67, v84, v56
	v_lshlrev_b16_e32 v56, 5, v67
	v_mov_b32_e32 v57, v121
	v_accvgpr_write_b32 a91, v73
	v_lshl_add_u64 v[56:57], s[6:7], 0, v[56:57]
	v_accvgpr_write_b32 a90, v72
	v_accvgpr_write_b32 a89, v71
	;; [unrolled: 1-line block ×3, first 2 shown]
	global_load_dwordx4 v[68:71], v[56:57], off offset:176
	global_load_dwordx4 v[72:75], v[56:57], off offset:160
	s_waitcnt vmcnt(1)
	v_accvgpr_write_b32 a101, v71
	s_waitcnt vmcnt(0) lgkmcnt(10)
	v_mul_f64 v[56:57], v[60:61], v[74:75]
	v_fma_f64 v[56:57], v[58:59], v[72:73], -v[56:57]
	v_mul_f64 v[58:59], v[58:59], v[74:75]
	v_fmac_f64_e32 v[58:59], v[60:61], v[72:73]
	s_waitcnt lgkmcnt(9)
	v_mul_f64 v[60:61], v[46:47], v[70:71]
	v_fma_f64 v[60:61], v[44:45], v[68:69], -v[60:61]
	v_mul_f64 v[44:45], v[44:45], v[70:71]
	v_fmac_f64_e32 v[44:45], v[46:47], v[68:69]
	v_mul_u32_u24_sdwa v46, v86, s18 dst_sel:DWORD dst_unused:UNUSED_PAD src0_sel:WORD_0 src1_sel:DWORD
	v_lshrrev_b32_e32 v81, 19, v46
	v_mul_lo_u16_e32 v46, 15, v81
	v_sub_u16_e32 v83, v86, v46
	v_lshlrev_b16_e32 v46, 5, v83
	v_mov_b32_e32 v47, v121
	v_accvgpr_write_b32 a109, v75
	v_lshl_add_u64 v[46:47], s[6:7], 0, v[46:47]
	v_accvgpr_write_b32 a108, v74
	v_accvgpr_write_b32 a107, v73
	;; [unrolled: 1-line block ×6, first 2 shown]
	global_load_dwordx4 v[68:71], v[46:47], off offset:176
	global_load_dwordx4 v[72:75], v[46:47], off offset:160
	s_waitcnt vmcnt(1)
	v_accvgpr_write_b32 a131, v71
	s_waitcnt vmcnt(0) lgkmcnt(7)
	v_mul_f64 v[46:47], v[42:43], v[74:75]
	v_fma_f64 v[46:47], v[40:41], v[72:73], -v[46:47]
	v_mul_f64 v[40:41], v[40:41], v[74:75]
	v_fmac_f64_e32 v[40:41], v[42:43], v[72:73]
	s_waitcnt lgkmcnt(6)
	v_mul_f64 v[42:43], v[38:39], v[70:71]
	v_fma_f64 v[42:43], v[36:37], v[68:69], -v[42:43]
	v_mul_f64 v[36:37], v[36:37], v[70:71]
	v_fmac_f64_e32 v[36:37], v[38:39], v[68:69]
	v_mul_u32_u24_sdwa v38, v80, s18 dst_sel:DWORD dst_unused:UNUSED_PAD src0_sel:WORD_0 src1_sel:DWORD
	v_lshrrev_b32_e32 v87, 19, v38
	v_mul_lo_u16_e32 v38, 15, v87
	v_sub_u16_e32 v88, v80, v38
	v_lshlrev_b16_e32 v38, 5, v88
	v_mov_b32_e32 v39, v121
	v_lshl_add_u64 v[38:39], s[6:7], 0, v[38:39]
	global_load_dwordx4 v[136:139], v[38:39], off offset:176
	global_load_dwordx4 v[144:147], v[38:39], off offset:160
	v_accvgpr_write_b32 a135, v75
	v_accvgpr_write_b32 a134, v74
	;; [unrolled: 1-line block ×7, first 2 shown]
	s_waitcnt vmcnt(0) lgkmcnt(4)
	v_mul_f64 v[38:39], v[34:35], v[146:147]
	v_fma_f64 v[38:39], v[32:33], v[144:145], -v[38:39]
	v_mul_f64 v[62:63], v[32:33], v[146:147]
	s_waitcnt lgkmcnt(3)
	v_mul_f64 v[32:33], v[30:31], v[138:139]
	v_fma_f64 v[32:33], v[28:29], v[136:137], -v[32:33]
	v_mul_f64 v[28:29], v[28:29], v[138:139]
	v_fmac_f64_e32 v[28:29], v[30:31], v[136:137]
	v_mul_u32_u24_sdwa v30, v82, s18 dst_sel:DWORD dst_unused:UNUSED_PAD src0_sel:WORD_0 src1_sel:DWORD
	v_lshrrev_b32_e32 v89, 19, v30
	v_mul_lo_u16_e32 v30, 15, v89
	v_sub_u16_e32 v90, v82, v30
	v_lshlrev_b16_e32 v30, 5, v90
	v_mov_b32_e32 v31, v121
	v_lshl_add_u64 v[30:31], s[6:7], 0, v[30:31]
	global_load_dwordx4 v[152:155], v[30:31], off offset:176
	global_load_dwordx4 v[160:163], v[30:31], off offset:160
	v_fmac_f64_e32 v[62:63], v[34:35], v[144:145]
	s_waitcnt lgkmcnt(0)
	s_barrier
	s_movk_i32 s18, 0x6d
	s_waitcnt vmcnt(1)
	v_mul_f64 v[74:75], v[20:21], v[154:155]
	s_waitcnt vmcnt(0)
	v_mul_f64 v[30:31], v[26:27], v[162:163]
	v_fma_f64 v[68:69], v[24:25], v[160:161], -v[30:31]
	v_mul_f64 v[70:71], v[24:25], v[162:163]
	v_mul_f64 v[24:25], v[22:23], v[154:155]
	v_fmac_f64_e32 v[74:75], v[22:23], v[152:153]
	v_add_f64 v[22:23], v[48:49], v[52:53]
	v_fmac_f64_e32 v[70:71], v[26:27], v[160:161]
	v_fma_f64 v[72:73], v[20:21], v[152:153], -v[24:25]
	v_add_f64 v[20:21], v[16:17], v[48:49]
	v_fmac_f64_e32 v[16:17], -0.5, v[22:23]
	v_add_f64 v[22:23], v[50:51], -v[54:55]
	v_add_f64 v[26:27], v[50:51], v[54:55]
	v_fma_f64 v[24:25], s[2:3], v[22:23], v[16:17]
	v_fmac_f64_e32 v[16:17], s[4:5], v[22:23]
	v_add_f64 v[22:23], v[18:19], v[50:51]
	v_fmac_f64_e32 v[18:19], -0.5, v[26:27]
	v_add_f64 v[30:31], v[48:49], -v[52:53]
	v_fma_f64 v[26:27], s[4:5], v[30:31], v[18:19]
	v_fmac_f64_e32 v[18:19], s[2:3], v[30:31]
	v_add_f64 v[30:31], v[12:13], v[56:57]
	v_add_f64 v[48:49], v[30:31], v[60:61]
	;; [unrolled: 1-line block ×3, first 2 shown]
	v_fmac_f64_e32 v[12:13], -0.5, v[30:31]
	v_add_f64 v[30:31], v[58:59], -v[44:45]
	v_add_f64 v[20:21], v[20:21], v[52:53]
	v_fma_f64 v[52:53], s[2:3], v[30:31], v[12:13]
	v_fmac_f64_e32 v[12:13], s[4:5], v[30:31]
	v_add_f64 v[30:31], v[14:15], v[58:59]
	v_add_f64 v[50:51], v[30:31], v[44:45]
	;; [unrolled: 1-line block ×3, first 2 shown]
	v_fmac_f64_e32 v[14:15], -0.5, v[30:31]
	v_add_f64 v[30:31], v[56:57], -v[60:61]
	v_add_f64 v[22:23], v[22:23], v[54:55]
	v_fma_f64 v[54:55], s[4:5], v[30:31], v[14:15]
	v_fmac_f64_e32 v[14:15], s[2:3], v[30:31]
	v_add_f64 v[30:31], v[8:9], v[46:47]
	v_add_f64 v[56:57], v[30:31], v[42:43]
	v_add_f64 v[30:31], v[46:47], v[42:43]
	v_fmac_f64_e32 v[8:9], -0.5, v[30:31]
	v_add_f64 v[30:31], v[40:41], -v[36:37]
	v_fma_f64 v[34:35], s[2:3], v[30:31], v[8:9]
	v_fmac_f64_e32 v[8:9], s[4:5], v[30:31]
	v_add_f64 v[30:31], v[10:11], v[40:41]
	v_add_f64 v[58:59], v[30:31], v[36:37]
	v_add_f64 v[30:31], v[40:41], v[36:37]
	v_fmac_f64_e32 v[10:11], -0.5, v[30:31]
	v_add_f64 v[30:31], v[46:47], -v[42:43]
	;; [unrolled: 7-line block ×6, first 2 shown]
	v_fma_f64 v[62:63], s[4:5], v[28:29], v[2:3]
	v_fmac_f64_e32 v[2:3], s[2:3], v[28:29]
	v_mul_u32_u24_e32 v28, 45, v64
	v_add_lshl_u32 v28, v28, v65, 4
	ds_write_b128 v28, v[20:23]
	ds_write_b128 v28, v[24:27] offset:240
	ds_write_b128 v28, v[16:19] offset:480
	v_mad_legacy_u16 v16, v66, 45, v67
	v_lshlrev_b32_e32 v16, 4, v16
	ds_write_b128 v16, v[48:51]
	ds_write_b128 v16, v[52:55] offset:240
	ds_write_b128 v16, v[12:15] offset:480
	v_mul_lo_u16_sdwa v52, v78, s18 dst_sel:DWORD dst_unused:UNUSED_PAD src0_sel:BYTE_0 src1_sel:DWORD
	v_sub_u16_sdwa v53, v78, v52 dst_sel:DWORD dst_unused:UNUSED_PAD src0_sel:DWORD src1_sel:BYTE_1
	v_lshrrev_b16_e32 v53, 1, v53
	v_and_b32_e32 v53, 0x7f, v53
	v_mad_legacy_u16 v12, v81, 45, v83
	v_add_u16_sdwa v52, v53, v52 dst_sel:DWORD dst_unused:UNUSED_PAD src0_sel:DWORD src1_sel:BYTE_1
	v_lshlrev_b32_e32 v12, 4, v12
	v_lshrrev_b16_e32 v97, 5, v52
	ds_write_b128 v12, v[56:59]
	ds_write_b128 v12, v[34:37] offset:240
	ds_write_b128 v12, v[8:11] offset:480
	v_mad_legacy_u16 v8, v87, 45, v88
	v_mul_lo_u16_e32 v52, 45, v97
	v_lshlrev_b32_e32 v8, 4, v8
	v_sub_u16_e32 v52, v78, v52
	ds_write_b128 v8, v[40:43]
	ds_write_b128 v8, v[30:33] offset:240
	ds_write_b128 v8, v[4:7] offset:480
	v_mad_legacy_u16 v4, v89, 45, v90
	v_and_b32_e32 v98, 0xff, v52
	v_lshlrev_b32_e32 v4, 4, v4
	v_lshlrev_b32_e32 v52, 5, v98
	v_accvgpr_write_b32 a136, v28
	v_accvgpr_write_b32 a118, v16
	;; [unrolled: 1-line block ×4, first 2 shown]
	ds_write_b128 v4, v[44:47]
	ds_write_b128 v4, v[60:63] offset:240
	ds_write_b128 v4, v[0:3] offset:480
	v_accvgpr_write_b32 a64, v4
	s_waitcnt lgkmcnt(0)
	s_barrier
	ds_read_b128 v[16:19], v120
	ds_read_b128 v[56:59], v120 offset:19440
	ds_read_b128 v[64:67], v120 offset:38880
	;; [unrolled: 1-line block ×14, first 2 shown]
	global_load_dwordx4 v[68:71], v52, s[6:7] offset:656
	global_load_dwordx4 v[72:75], v52, s[6:7] offset:640
	s_movk_i32 s18, 0x2d83
	s_waitcnt vmcnt(1)
	v_accvgpr_write_b32 a66, v68
	s_waitcnt vmcnt(0) lgkmcnt(13)
	v_mul_f64 v[52:53], v[58:59], v[74:75]
	v_fma_f64 v[54:55], v[56:57], v[72:73], -v[52:53]
	s_waitcnt lgkmcnt(12)
	v_mul_f64 v[52:53], v[66:67], v[70:71]
	v_fma_f64 v[62:63], v[64:65], v[68:69], -v[52:53]
	v_mul_u32_u24_sdwa v52, v84, s18 dst_sel:DWORD dst_unused:UNUSED_PAD src0_sel:WORD_0 src1_sel:DWORD
	v_lshrrev_b32_e32 v87, 19, v52
	v_mul_lo_u16_e32 v52, 45, v87
	v_sub_u16_e32 v95, v84, v52
	v_lshlrev_b16_e32 v52, 5, v95
	v_mov_b32_e32 v53, v121
	v_mul_f64 v[60:61], v[56:57], v[74:75]
	v_accvgpr_write_b32 a70, v72
	v_lshl_add_u64 v[52:53], s[6:7], 0, v[52:53]
	v_fmac_f64_e32 v[60:61], v[58:59], v[72:73]
	v_accvgpr_write_b32 a71, v73
	v_accvgpr_write_b32 a72, v74
	v_accvgpr_write_b32 a73, v75
	v_mul_f64 v[64:65], v[64:65], v[70:71]
	v_accvgpr_write_b32 a67, v69
	v_accvgpr_write_b32 a68, v70
	;; [unrolled: 1-line block ×3, first 2 shown]
	global_load_dwordx4 v[56:59], v[52:53], off offset:656
	global_load_dwordx4 v[70:73], v[52:53], off offset:640
	v_fmac_f64_e32 v[64:65], v[66:67], v[68:69]
	s_waitcnt vmcnt(1)
	v_accvgpr_write_b32 a79, v59
	s_waitcnt vmcnt(0) lgkmcnt(10)
	v_mul_f64 v[52:53], v[50:51], v[72:73]
	v_fma_f64 v[66:67], v[48:49], v[70:71], -v[52:53]
	v_mul_f64 v[68:69], v[48:49], v[72:73]
	v_accvgpr_write_b32 a87, v73
	s_waitcnt lgkmcnt(9)
	v_mul_f64 v[48:49], v[46:47], v[58:59]
	v_fmac_f64_e32 v[68:69], v[50:51], v[70:71]
	v_accvgpr_write_b32 a86, v72
	v_accvgpr_write_b32 a85, v71
	;; [unrolled: 1-line block ×3, first 2 shown]
	v_fma_f64 v[70:71], v[44:45], v[56:57], -v[48:49]
	v_mul_f64 v[72:73], v[44:45], v[58:59]
	v_mul_u32_u24_sdwa v44, v86, s18 dst_sel:DWORD dst_unused:UNUSED_PAD src0_sel:WORD_0 src1_sel:DWORD
	v_lshrrev_b32_e32 v94, 19, v44
	v_mul_lo_u16_e32 v44, 45, v94
	v_sub_u16_e32 v96, v86, v44
	v_lshlrev_b16_e32 v44, 5, v96
	v_mov_b32_e32 v45, v121
	v_lshl_add_u64 v[44:45], s[6:7], 0, v[44:45]
	v_fmac_f64_e32 v[72:73], v[46:47], v[56:57]
	global_load_dwordx4 v[46:49], v[44:45], off offset:656
	global_load_dwordx4 v[50:53], v[44:45], off offset:640
	v_accvgpr_write_b32 a78, v58
	v_accvgpr_write_b32 a77, v57
	;; [unrolled: 1-line block ×3, first 2 shown]
	s_waitcnt vmcnt(1) lgkmcnt(6)
	v_mul_f64 v[92:93], v[36:37], v[48:49]
	s_waitcnt vmcnt(0)
	v_mul_f64 v[44:45], v[42:43], v[52:53]
	v_fma_f64 v[74:75], v[40:41], v[50:51], -v[44:45]
	v_mul_f64 v[88:89], v[40:41], v[52:53]
	v_mul_f64 v[40:41], v[38:39], v[48:49]
	v_fma_f64 v[90:91], v[36:37], v[46:47], -v[40:41]
	v_mul_u32_u24_sdwa v36, v80, s18 dst_sel:DWORD dst_unused:UNUSED_PAD src0_sel:WORD_0 src1_sel:DWORD
	v_lshrrev_b32_e32 v81, 19, v36
	v_mul_lo_u16_e32 v36, 45, v81
	v_sub_u16_e32 v83, v80, v36
	v_lshlrev_b16_e32 v36, 5, v83
	v_mov_b32_e32 v37, v121
	v_lshl_add_u64 v[36:37], s[6:7], 0, v[36:37]
	v_fmac_f64_e32 v[92:93], v[38:39], v[46:47]
	global_load_dwordx4 v[38:41], v[36:37], off offset:656
	global_load_dwordx4 v[128:131], v[36:37], off offset:640
	v_accvgpr_write_b32 a117, v53
	v_accvgpr_write_b32 a116, v52
	;; [unrolled: 1-line block ×8, first 2 shown]
	v_fmac_f64_e32 v[88:89], v[42:43], v[50:51]
	s_waitcnt vmcnt(1) lgkmcnt(3)
	v_mul_f64 v[108:109], v[28:29], v[40:41]
	s_waitcnt vmcnt(0)
	v_mul_f64 v[36:37], v[34:35], v[130:131]
	v_fma_f64 v[102:103], v[32:33], v[128:129], -v[36:37]
	v_mul_f64 v[104:105], v[32:33], v[130:131]
	v_mul_f64 v[32:33], v[30:31], v[40:41]
	v_fma_f64 v[106:107], v[28:29], v[38:39], -v[32:33]
	v_mul_u32_u24_sdwa v28, v82, s18 dst_sel:DWORD dst_unused:UNUSED_PAD src0_sel:WORD_0 src1_sel:DWORD
	v_lshrrev_b32_e32 v99, 19, v28
	v_mul_lo_u16_e32 v28, 45, v99
	v_sub_u16_e32 v100, v82, v28
	v_lshlrev_b16_e32 v28, 5, v100
	v_mov_b32_e32 v29, v121
	v_lshl_add_u64 v[28:29], s[6:7], 0, v[28:29]
	global_load_dwordx4 v[168:171], v[28:29], off offset:656
	global_load_dwordx4 v[176:179], v[28:29], off offset:640
	v_accvgpr_write_b32 a145, v41
	v_accvgpr_write_b32 a144, v40
	v_accvgpr_write_b32 a143, v39
	v_accvgpr_write_b32 a142, v38
	v_fmac_f64_e32 v[108:109], v[30:31], v[38:39]
	v_fmac_f64_e32 v[104:105], v[34:35], v[128:129]
	s_movk_i32 s18, 0x87
	s_waitcnt lgkmcnt(0)
	s_barrier
	v_cmp_gt_u16_e32 vcc, s18, v78
	s_waitcnt vmcnt(1)
	v_mul_f64 v[116:117], v[20:21], v[170:171]
	s_waitcnt vmcnt(0)
	v_mul_f64 v[28:29], v[26:27], v[178:179]
	v_fma_f64 v[110:111], v[24:25], v[176:177], -v[28:29]
	v_mul_f64 v[112:113], v[24:25], v[178:179]
	v_mul_f64 v[24:25], v[22:23], v[170:171]
	v_fma_f64 v[114:115], v[20:21], v[168:169], -v[24:25]
	v_add_f64 v[20:21], v[16:17], v[54:55]
	v_add_f64 v[56:57], v[20:21], v[62:63]
	v_add_f64 v[20:21], v[54:55], v[62:63]
	v_fmac_f64_e32 v[16:17], -0.5, v[20:21]
	v_add_f64 v[20:21], v[60:61], -v[64:65]
	v_fma_f64 v[52:53], s[2:3], v[20:21], v[16:17]
	v_fmac_f64_e32 v[16:17], s[4:5], v[20:21]
	v_add_f64 v[20:21], v[18:19], v[60:61]
	v_add_f64 v[58:59], v[20:21], v[64:65]
	v_add_f64 v[20:21], v[60:61], v[64:65]
	v_fmac_f64_e32 v[18:19], -0.5, v[20:21]
	v_add_f64 v[20:21], v[54:55], -v[62:63]
	v_fma_f64 v[54:55], s[4:5], v[20:21], v[18:19]
	v_fmac_f64_e32 v[18:19], s[2:3], v[20:21]
	;; [unrolled: 7-line block ×8, first 2 shown]
	v_add_f64 v[20:21], v[0:1], v[110:111]
	v_fmac_f64_e32 v[112:113], v[26:27], v[176:177]
	v_fmac_f64_e32 v[116:117], v[22:23], v[168:169]
	v_add_f64 v[24:25], v[20:21], v[114:115]
	v_add_f64 v[20:21], v[110:111], v[114:115]
	v_fmac_f64_e32 v[0:1], -0.5, v[20:21]
	v_add_f64 v[22:23], v[112:113], -v[116:117]
	v_fma_f64 v[20:21], s[2:3], v[22:23], v[0:1]
	v_fmac_f64_e32 v[0:1], s[4:5], v[22:23]
	v_add_f64 v[22:23], v[2:3], v[112:113]
	v_add_f64 v[26:27], v[22:23], v[116:117]
	;; [unrolled: 1-line block ×3, first 2 shown]
	v_fmac_f64_e32 v[2:3], -0.5, v[22:23]
	v_add_f64 v[60:61], v[110:111], -v[114:115]
	v_fma_f64 v[22:23], s[4:5], v[60:61], v[2:3]
	v_fmac_f64_e32 v[2:3], s[2:3], v[60:61]
	v_mul_u32_u24_e32 v60, 0x87, v97
	v_add_lshl_u32 v60, v60, v98, 4
	ds_write_b128 v60, v[56:59]
	ds_write_b128 v60, v[52:55] offset:720
	ds_write_b128 v60, v[16:19] offset:1440
	v_mad_legacy_u16 v16, v87, s18, v95
	v_lshlrev_b32_e32 v16, 4, v16
	ds_write_b128 v16, v[48:51]
	ds_write_b128 v16, v[44:47] offset:720
	ds_write_b128 v16, v[12:15] offset:1440
	v_mad_legacy_u16 v12, v94, s18, v96
	v_lshlrev_b32_e32 v12, 4, v12
	v_accvgpr_write_b32 a146, v60
	ds_write_b128 v12, v[40:43]
	ds_write_b128 v12, v[36:39] offset:720
	ds_write_b128 v12, v[8:11] offset:1440
	v_mad_legacy_u16 v8, v81, s18, v83
	v_lshl_add_u64 v[60:61], v[78:79], 0, s[24:25]
	v_lshlrev_b32_e32 v8, 4, v8
	v_cndmask_b32_e64 v61, v61, 0, vcc
	v_cndmask_b32_e32 v60, v60, v78, vcc
	ds_write_b128 v8, v[32:35]
	ds_write_b128 v8, v[28:31] offset:720
	ds_write_b128 v8, v[4:7] offset:1440
	v_mad_legacy_u16 v4, v99, s18, v100
	v_lshlrev_b64 v[62:63], 5, v[60:61]
	v_lshlrev_b32_e32 v4, 4, v4
	v_lshl_add_u64 v[62:63], s[6:7], 0, v[62:63]
	v_accvgpr_write_b32 a141, v16
	v_accvgpr_write_b32 a140, v12
	;; [unrolled: 1-line block ×3, first 2 shown]
	ds_write_b128 v4, v[24:27]
	ds_write_b128 v4, v[20:23] offset:720
	ds_write_b128 v4, v[0:3] offset:1440
	v_accvgpr_write_b32 a148, v4
	s_waitcnt lgkmcnt(0)
	s_barrier
	ds_read_b128 v[16:19], v120
	ds_read_b128 v[52:55], v120 offset:19440
	ds_read_b128 v[56:59], v120 offset:38880
	ds_read_b128 v[12:15], v120 offset:3888
	ds_read_b128 v[48:51], v120 offset:23328
	ds_read_b128 v[44:47], v120 offset:42768
	ds_read_b128 v[8:11], v120 offset:7776
	ds_read_b128 v[40:43], v120 offset:27216
	ds_read_b128 v[36:39], v120 offset:46656
	ds_read_b128 v[4:7], v120 offset:11664
	ds_read_b128 v[32:35], v120 offset:31104
	ds_read_b128 v[28:31], v120 offset:50544
	ds_read_b128 v[0:3], v120 offset:15552
	ds_read_b128 v[24:27], v120 offset:34992
	ds_read_b128 v[20:23], v120 offset:54432
	global_load_dwordx4 v[180:183], v[62:63], off offset:2096
	global_load_dwordx4 v[184:187], v[62:63], off offset:2080
	s_movk_i32 s18, 0x795d
	v_mov_b32_e32 v69, 0x195
	s_movk_i32 s24, 0xff5e
	s_mov_b32 s25, -1
	s_waitcnt vmcnt(1) lgkmcnt(12)
	v_mul_f64 v[74:75], v[56:57], v[182:183]
	s_waitcnt vmcnt(0)
	v_mul_f64 v[62:63], v[54:55], v[186:187]
	v_fma_f64 v[70:71], v[52:53], v[184:185], -v[62:63]
	v_mul_f64 v[72:73], v[52:53], v[186:187]
	v_mul_f64 v[52:53], v[58:59], v[182:183]
	v_fmac_f64_e32 v[72:73], v[54:55], v[184:185]
	v_fma_f64 v[54:55], v[56:57], v[180:181], -v[52:53]
	v_mul_u32_u24_sdwa v52, v84, s18 dst_sel:DWORD dst_unused:UNUSED_PAD src0_sel:WORD_0 src1_sel:DWORD
	v_lshrrev_b32_e32 v67, 22, v52
	v_mul_lo_u16_e32 v52, 0x87, v67
	v_sub_u16_e32 v68, v84, v52
	v_lshlrev_b16_e32 v52, 5, v68
	v_mov_b32_e32 v53, v121
	v_lshl_add_u64 v[52:53], s[6:7], 0, v[52:53]
	global_load_dwordx4 v[188:191], v[52:53], off offset:2096
	global_load_dwordx4 v[192:195], v[52:53], off offset:2080
	v_fmac_f64_e32 v[74:75], v[58:59], v[180:181]
	s_waitcnt vmcnt(1) lgkmcnt(9)
	v_mul_f64 v[94:95], v[44:45], v[190:191]
	s_waitcnt vmcnt(0)
	v_mul_f64 v[52:53], v[50:51], v[194:195]
	v_fma_f64 v[88:89], v[48:49], v[192:193], -v[52:53]
	v_mul_f64 v[90:91], v[48:49], v[194:195]
	v_mul_f64 v[48:49], v[46:47], v[190:191]
	v_fma_f64 v[92:93], v[44:45], v[188:189], -v[48:49]
	v_mul_u32_u24_sdwa v44, v86, s18 dst_sel:DWORD dst_unused:UNUSED_PAD src0_sel:WORD_0 src1_sel:DWORD
	v_lshrrev_b32_e32 v65, 22, v44
	v_mul_lo_u16_e32 v44, 0x87, v65
	v_sub_u16_e32 v66, v86, v44
	v_lshlrev_b16_e32 v44, 5, v66
	v_mov_b32_e32 v45, v121
	v_lshl_add_u64 v[44:45], s[6:7], 0, v[44:45]
	global_load_dwordx4 v[196:199], v[44:45], off offset:2096
	global_load_dwordx4 v[200:203], v[44:45], off offset:2080
	v_fmac_f64_e32 v[90:91], v[50:51], v[192:193]
	v_fmac_f64_e32 v[94:95], v[46:47], v[188:189]
	s_waitcnt vmcnt(1) lgkmcnt(6)
	v_mul_f64 v[102:103], v[36:37], v[198:199]
	s_waitcnt vmcnt(0)
	v_mul_f64 v[44:45], v[42:43], v[202:203]
	v_fma_f64 v[96:97], v[40:41], v[200:201], -v[44:45]
	v_mul_f64 v[98:99], v[40:41], v[202:203]
	v_mul_f64 v[40:41], v[38:39], v[198:199]
	v_fma_f64 v[100:101], v[36:37], v[196:197], -v[40:41]
	v_mul_u32_u24_sdwa v36, v80, s18 dst_sel:DWORD dst_unused:UNUSED_PAD src0_sel:WORD_0 src1_sel:DWORD
	v_lshrrev_b32_e32 v63, 22, v36
	v_mul_lo_u16_e32 v36, 0x87, v63
	v_sub_u16_e32 v64, v80, v36
	v_lshlrev_b16_e32 v36, 5, v64
	v_mov_b32_e32 v37, v121
	v_lshl_add_u64 v[36:37], s[6:7], 0, v[36:37]
	global_load_dwordx4 v[204:207], v[36:37], off offset:2096
	global_load_dwordx4 v[208:211], v[36:37], off offset:2080
	v_fmac_f64_e32 v[98:99], v[42:43], v[200:201]
	v_fmac_f64_e32 v[102:103], v[38:39], v[196:197]
	s_waitcnt vmcnt(1) lgkmcnt(3)
	v_mul_f64 v[110:111], v[28:29], v[206:207]
	s_waitcnt vmcnt(0)
	v_mul_f64 v[36:37], v[34:35], v[210:211]
	v_fma_f64 v[104:105], v[32:33], v[208:209], -v[36:37]
	v_mul_f64 v[106:107], v[32:33], v[210:211]
	v_mul_f64 v[32:33], v[30:31], v[206:207]
	v_fma_f64 v[108:109], v[28:29], v[204:205], -v[32:33]
	v_mul_u32_u24_sdwa v28, v82, s18 dst_sel:DWORD dst_unused:UNUSED_PAD src0_sel:WORD_0 src1_sel:DWORD
	v_lshrrev_b32_e32 v61, 22, v28
	v_mul_lo_u16_e32 v28, 0x87, v61
	v_sub_u16_e32 v62, v82, v28
	v_lshlrev_b16_e32 v28, 5, v62
	v_mov_b32_e32 v29, v121
	v_lshl_add_u64 v[28:29], s[6:7], 0, v[28:29]
	global_load_dwordx4 v[212:215], v[28:29], off offset:2096
	global_load_dwordx4 v[216:219], v[28:29], off offset:2080
	s_movk_i32 s18, 0x86
	v_fmac_f64_e32 v[106:107], v[34:35], v[208:209]
	v_fmac_f64_e32 v[110:111], v[30:31], v[204:205]
	v_cmp_lt_u16_e32 vcc, s18, v78
	s_waitcnt lgkmcnt(0)
	s_barrier
	v_cndmask_b32_e32 v69, 0, v69, vcc
	v_add_lshl_u32 v60, v60, v69, 4
	v_accvgpr_write_b32 a149, v60
	s_mov_b64 s[18:19], 0x1900
	s_waitcnt vmcnt(1)
	v_mul_f64 v[118:119], v[20:21], v[214:215]
	s_waitcnt vmcnt(0)
	v_mul_f64 v[28:29], v[26:27], v[218:219]
	v_fma_f64 v[112:113], v[24:25], v[216:217], -v[28:29]
	v_mul_f64 v[114:115], v[24:25], v[218:219]
	v_mul_f64 v[24:25], v[22:23], v[214:215]
	v_fma_f64 v[116:117], v[20:21], v[212:213], -v[24:25]
	v_add_f64 v[20:21], v[16:17], v[70:71]
	v_add_f64 v[56:57], v[20:21], v[54:55]
	v_add_f64 v[20:21], v[70:71], v[54:55]
	v_fmac_f64_e32 v[16:17], -0.5, v[20:21]
	v_add_f64 v[20:21], v[72:73], -v[74:75]
	v_fma_f64 v[52:53], s[2:3], v[20:21], v[16:17]
	v_fmac_f64_e32 v[16:17], s[4:5], v[20:21]
	v_add_f64 v[20:21], v[18:19], v[72:73]
	v_add_f64 v[58:59], v[20:21], v[74:75]
	v_add_f64 v[20:21], v[72:73], v[74:75]
	v_fmac_f64_e32 v[18:19], -0.5, v[20:21]
	v_add_f64 v[20:21], v[70:71], -v[54:55]
	v_fma_f64 v[54:55], s[4:5], v[20:21], v[18:19]
	v_fmac_f64_e32 v[18:19], s[2:3], v[20:21]
	;; [unrolled: 7-line block ×7, first 2 shown]
	v_add_f64 v[20:21], v[6:7], v[106:107]
	v_add_f64 v[34:35], v[20:21], v[110:111]
	;; [unrolled: 1-line block ×3, first 2 shown]
	ds_write_b128 v60, v[56:59]
	ds_write_b128 v60, v[52:55] offset:2160
	ds_write_b128 v60, v[16:19] offset:4320
	v_mad_legacy_u16 v16, v67, s23, v68
	v_fmac_f64_e32 v[6:7], -0.5, v[20:21]
	v_add_f64 v[20:21], v[104:105], -v[108:109]
	v_lshlrev_b32_e32 v16, 4, v16
	v_fma_f64 v[30:31], s[4:5], v[20:21], v[6:7]
	v_fmac_f64_e32 v[6:7], s[2:3], v[20:21]
	v_add_f64 v[20:21], v[0:1], v[112:113]
	ds_write_b128 v16, v[48:51]
	ds_write_b128 v16, v[44:47] offset:2160
	ds_write_b128 v16, v[12:15] offset:4320
	v_mad_legacy_u16 v12, v65, s23, v66
	v_fmac_f64_e32 v[114:115], v[26:27], v[216:217]
	v_fmac_f64_e32 v[118:119], v[22:23], v[212:213]
	v_add_f64 v[24:25], v[20:21], v[116:117]
	v_add_f64 v[20:21], v[112:113], v[116:117]
	v_lshlrev_b32_e32 v12, 4, v12
	v_fmac_f64_e32 v[0:1], -0.5, v[20:21]
	v_add_f64 v[22:23], v[114:115], -v[118:119]
	ds_write_b128 v12, v[40:43]
	ds_write_b128 v12, v[36:39] offset:2160
	ds_write_b128 v12, v[8:11] offset:4320
	v_mad_legacy_u16 v8, v63, s23, v64
	v_fma_f64 v[20:21], s[2:3], v[22:23], v[0:1]
	v_fmac_f64_e32 v[0:1], s[4:5], v[22:23]
	v_add_f64 v[22:23], v[2:3], v[114:115]
	v_lshlrev_b32_e32 v8, 4, v8
	v_lshlrev_b32_e32 v52, 5, v78
	v_mov_b32_e32 v53, v121
	v_add_f64 v[26:27], v[22:23], v[118:119]
	v_add_f64 v[22:23], v[114:115], v[118:119]
	ds_write_b128 v8, v[32:35]
	ds_write_b128 v8, v[28:31] offset:2160
	ds_write_b128 v8, v[4:7] offset:4320
	v_mad_legacy_u16 v4, v61, s23, v62
	v_lshl_add_u64 v[60:61], s[6:7], 0, v[52:53]
	v_fmac_f64_e32 v[2:3], -0.5, v[22:23]
	v_add_f64 v[70:71], v[112:113], -v[116:117]
	v_add_co_u32_e32 v54, vcc, s22, v60
	v_fma_f64 v[22:23], s[4:5], v[70:71], v[2:3]
	v_fmac_f64_e32 v[2:3], s[2:3], v[70:71]
	v_lshlrev_b32_e32 v4, 4, v4
	v_addc_co_u32_e32 v55, vcc, 0, v61, vcc
	v_accvgpr_write_b32 a150, v16
	v_accvgpr_write_b32 a151, v12
	;; [unrolled: 1-line block ×3, first 2 shown]
	ds_write_b128 v4, v[24:27]
	ds_write_b128 v4, v[20:23] offset:2160
	ds_write_b128 v4, v[0:3] offset:4320
	v_accvgpr_write_b32 a153, v4
	s_waitcnt lgkmcnt(0)
	s_barrier
	ds_read_b128 v[16:19], v120
	ds_read_b128 v[56:59], v120 offset:19440
	ds_read_b128 v[68:71], v120 offset:38880
	;; [unrolled: 1-line block ×14, first 2 shown]
	v_lshl_add_u64 v[52:53], v[60:61], 0, s[18:19]
	global_load_dwordx4 v[224:227], v[54:55], off offset:2304
	global_load_dwordx4 v[220:223], v[52:53], off offset:16
	s_waitcnt vmcnt(1) lgkmcnt(13)
	v_mul_f64 v[52:53], v[58:59], v[226:227]
	v_fma_f64 v[54:55], v[56:57], v[224:225], -v[52:53]
	s_waitcnt vmcnt(0) lgkmcnt(12)
	v_mul_f64 v[52:53], v[70:71], v[222:223]
	v_fma_f64 v[66:67], v[68:69], v[220:221], -v[52:53]
	v_lshl_add_u64 v[52:53], v[78:79], 0, s[24:25]
	s_movk_i32 s24, 0xa2
	v_cmp_gt_u16_e32 vcc, s24, v78
	v_mul_f64 v[64:65], v[56:57], v[226:227]
	s_mov_b64 s[24:25], 0x2320
	v_cndmask_b32_e32 v63, v53, v85, vcc
	v_cndmask_b32_e32 v62, v52, v84, vcc
	v_lshlrev_b64 v[52:53], 5, v[62:63]
	v_lshl_add_u64 v[52:53], s[6:7], 0, v[52:53]
	v_lshl_add_u64 v[56:57], v[52:53], 0, s[18:19]
	v_add_co_u32_e32 v52, vcc, s22, v52
	v_mul_f64 v[68:69], v[68:69], v[222:223]
	s_nop 0
	v_addc_co_u32_e32 v53, vcc, 0, v53, vcc
	global_load_dwordx4 v[232:235], v[52:53], off offset:2304
	global_load_dwordx4 v[228:231], v[56:57], off offset:16
	v_fmac_f64_e32 v[68:69], v[70:71], v[220:221]
	v_fmac_f64_e32 v[64:65], v[58:59], v[224:225]
	s_waitcnt vmcnt(1) lgkmcnt(10)
	v_mul_f64 v[52:53], v[50:51], v[234:235]
	s_waitcnt vmcnt(0) lgkmcnt(9)
	v_mul_f64 v[90:91], v[44:45], v[230:231]
	v_fma_f64 v[72:73], v[48:49], v[232:233], -v[52:53]
	v_mul_f64 v[74:75], v[48:49], v[234:235]
	v_mul_f64 v[48:49], v[46:47], v[230:231]
	v_fmac_f64_e32 v[90:91], v[46:47], v[228:229]
	v_add_co_u32_e32 v46, vcc, s21, v60
	v_fma_f64 v[88:89], v[44:45], v[228:229], -v[48:49]
	s_nop 0
	v_addc_co_u32_e32 v47, vcc, 0, v61, vcc
	v_lshl_add_u64 v[44:45], v[60:61], 0, s[24:25]
	global_load_dwordx4 v[240:243], v[46:47], off offset:800
	global_load_dwordx4 v[236:239], v[44:45], off offset:16
	s_movk_i32 s21, 0x43a3
	v_fmac_f64_e32 v[74:75], v[50:51], v[232:233]
	s_waitcnt vmcnt(1) lgkmcnt(7)
	v_mul_f64 v[44:45], v[42:43], v[242:243]
	v_fma_f64 v[92:93], v[40:41], v[240:241], -v[44:45]
	v_mul_f64 v[94:95], v[40:41], v[242:243]
	s_waitcnt vmcnt(0) lgkmcnt(6)
	v_mul_f64 v[40:41], v[38:39], v[238:239]
	v_fma_f64 v[96:97], v[36:37], v[236:237], -v[40:41]
	v_mul_f64 v[98:99], v[36:37], v[238:239]
	v_mul_u32_u24_sdwa v36, v80, s21 dst_sel:DWORD dst_unused:UNUSED_PAD src0_sel:WORD_0 src1_sel:DWORD
	v_sub_u16_sdwa v37, v80, v36 dst_sel:DWORD dst_unused:UNUSED_PAD src0_sel:DWORD src1_sel:WORD_1
	v_lshrrev_b16_e32 v37, 1, v37
	v_add_u16_sdwa v36, v37, v36 dst_sel:DWORD dst_unused:UNUSED_PAD src0_sel:DWORD src1_sel:WORD_1
	v_lshrrev_b16_e32 v63, 8, v36
	v_mul_lo_u16_e32 v36, 0x195, v63
	v_sub_u16_e32 v70, v80, v36
	v_lshlrev_b16_e32 v36, 5, v70
	v_mov_b32_e32 v37, v121
	v_lshl_add_u64 v[36:37], s[6:7], 0, v[36:37]
	v_fmac_f64_e32 v[98:99], v[38:39], v[236:237]
	v_lshl_add_u64 v[38:39], v[36:37], 0, s[18:19]
	v_add_co_u32_e32 v36, vcc, s22, v36
	v_fmac_f64_e32 v[94:95], v[42:43], v[240:241]
	s_nop 0
	v_addc_co_u32_e32 v37, vcc, 0, v37, vcc
	global_load_dwordx4 v[248:251], v[36:37], off offset:2304
	global_load_dwordx4 v[244:247], v[38:39], off offset:16
	s_waitcnt vmcnt(1) lgkmcnt(4)
	v_mul_f64 v[36:37], v[34:35], v[250:251]
	v_fma_f64 v[100:101], v[32:33], v[248:249], -v[36:37]
	v_mul_f64 v[102:103], v[32:33], v[250:251]
	s_waitcnt vmcnt(0) lgkmcnt(3)
	v_mul_f64 v[32:33], v[30:31], v[246:247]
	v_fma_f64 v[104:105], v[28:29], v[244:245], -v[32:33]
	v_mul_f64 v[106:107], v[28:29], v[246:247]
	v_mul_u32_u24_sdwa v28, v82, s21 dst_sel:DWORD dst_unused:UNUSED_PAD src0_sel:WORD_0 src1_sel:DWORD
	v_sub_u16_sdwa v29, v82, v28 dst_sel:DWORD dst_unused:UNUSED_PAD src0_sel:DWORD src1_sel:WORD_1
	v_lshrrev_b16_e32 v29, 1, v29
	v_add_u16_sdwa v28, v29, v28 dst_sel:DWORD dst_unused:UNUSED_PAD src0_sel:DWORD src1_sel:WORD_1
	v_mul_lo_u16_sdwa v28, v28, s23 dst_sel:DWORD dst_unused:UNUSED_PAD src0_sel:BYTE_1 src1_sel:DWORD
	v_sub_u16_e32 v71, v82, v28
	v_lshlrev_b16_e32 v28, 5, v71
	v_mov_b32_e32 v29, v121
	v_lshl_add_u64 v[28:29], s[6:7], 0, v[28:29]
	v_fmac_f64_e32 v[106:107], v[30:31], v[244:245]
	v_lshl_add_u64 v[30:31], v[28:29], 0, s[18:19]
	v_add_co_u32_e32 v28, vcc, s22, v28
	v_fmac_f64_e32 v[102:103], v[34:35], v[248:249]
	s_nop 0
	v_addc_co_u32_e32 v29, vcc, 0, v29, vcc
	global_load_dwordx4 v[122:125], v[28:29], off offset:2304
	global_load_dwordx4 v[252:255], v[30:31], off offset:16
	s_movk_i32 s18, 0xa1
	s_waitcnt lgkmcnt(0)
	s_barrier
	v_cmp_lt_u16_e32 vcc, s18, v78
	s_movk_i32 s18, 0x4bf
	v_lshlrev_b32_e32 v79, 4, v71
	s_waitcnt vmcnt(1)
	v_mul_f64 v[28:29], v[26:27], v[124:125]
	v_fma_f64 v[108:109], v[24:25], v[122:123], -v[28:29]
	v_mul_f64 v[110:111], v[24:25], v[124:125]
	s_waitcnt vmcnt(0)
	v_mul_f64 v[24:25], v[22:23], v[254:255]
	v_fma_f64 v[112:113], v[20:21], v[252:253], -v[24:25]
	v_mul_f64 v[114:115], v[20:21], v[254:255]
	v_add_f64 v[20:21], v[16:17], v[54:55]
	v_add_f64 v[56:57], v[20:21], v[66:67]
	v_add_f64 v[20:21], v[54:55], v[66:67]
	v_fmac_f64_e32 v[16:17], -0.5, v[20:21]
	v_add_f64 v[20:21], v[64:65], -v[68:69]
	v_fma_f64 v[52:53], s[2:3], v[20:21], v[16:17]
	v_fmac_f64_e32 v[16:17], s[4:5], v[20:21]
	v_add_f64 v[20:21], v[18:19], v[64:65]
	v_add_f64 v[58:59], v[20:21], v[68:69]
	v_add_f64 v[20:21], v[64:65], v[68:69]
	v_fmac_f64_e32 v[18:19], -0.5, v[20:21]
	v_add_f64 v[20:21], v[54:55], -v[66:67]
	v_fma_f64 v[54:55], s[4:5], v[20:21], v[18:19]
	v_fmac_f64_e32 v[18:19], s[2:3], v[20:21]
	;; [unrolled: 7-line block ×8, first 2 shown]
	v_add_f64 v[20:21], v[0:1], v[108:109]
	v_fmac_f64_e32 v[110:111], v[26:27], v[122:123]
	v_fmac_f64_e32 v[114:115], v[22:23], v[252:253]
	v_add_f64 v[24:25], v[20:21], v[112:113]
	v_add_f64 v[20:21], v[108:109], v[112:113]
	v_fmac_f64_e32 v[0:1], -0.5, v[20:21]
	v_add_f64 v[22:23], v[110:111], -v[114:115]
	ds_write_b128 v120, v[56:59]
	ds_write_b128 v120, v[52:55] offset:6480
	ds_write_b128 v120, v[16:19] offset:12960
	v_mov_b32_e32 v16, 0x4bf
	v_fma_f64 v[20:21], s[2:3], v[22:23], v[0:1]
	v_fmac_f64_e32 v[0:1], s[4:5], v[22:23]
	v_add_f64 v[22:23], v[2:3], v[110:111]
	v_cndmask_b32_e32 v16, 0, v16, vcc
	v_add_f64 v[26:27], v[22:23], v[114:115]
	v_add_f64 v[22:23], v[110:111], v[114:115]
	v_add_lshl_u32 v16, v62, v16, 4
	v_fmac_f64_e32 v[2:3], -0.5, v[22:23]
	v_add_f64 v[64:65], v[108:109], -v[112:113]
	ds_write_b128 v16, v[48:51]
	ds_write_b128 v16, v[44:47] offset:6480
	ds_write_b128 v16, v[12:15] offset:12960
	;; [unrolled: 1-line block ×5, first 2 shown]
	v_mad_legacy_u16 v8, v63, s18, v70
	v_add_co_u32_e32 v58, vcc, s20, v60
	v_fma_f64 v[22:23], s[4:5], v[64:65], v[2:3]
	v_fmac_f64_e32 v[2:3], s[2:3], v[64:65]
	v_lshlrev_b32_e32 v8, 4, v8
	s_mov_b64 s[18:19], 0x4ba0
	v_addc_co_u32_e32 v59, vcc, 0, v61, vcc
	v_accvgpr_write_b32 a154, v16
	ds_write_b128 v8, v[32:35]
	ds_write_b128 v8, v[28:31] offset:6480
	ds_write_b128 v8, v[4:7] offset:12960
	v_accvgpr_write_b32 a155, v8
	ds_write_b128 v79, v[24:27] offset:38880
	ds_write_b128 v79, v[20:23] offset:45360
	;; [unrolled: 1-line block ×3, first 2 shown]
	s_waitcnt lgkmcnt(0)
	s_barrier
	ds_read_b128 v[16:19], v120
	ds_read_b128 v[54:57], v120 offset:19440
	ds_read_b128 v[62:65], v120 offset:38880
	;; [unrolled: 1-line block ×14, first 2 shown]
	v_lshl_add_u64 v[52:53], v[60:61], 0, s[18:19]
	global_load_dwordx4 v[112:115], v[58:59], off offset:2976
	global_load_dwordx4 v[116:119], v[52:53], off offset:16
	s_waitcnt vmcnt(1) lgkmcnt(13)
	v_mul_f64 v[52:53], v[56:57], v[114:115]
	v_fma_f64 v[52:53], v[54:55], v[112:113], -v[52:53]
	v_mul_f64 v[54:55], v[54:55], v[114:115]
	v_fmac_f64_e32 v[54:55], v[56:57], v[112:113]
	s_waitcnt vmcnt(0) lgkmcnt(12)
	v_mul_f64 v[56:57], v[64:65], v[118:119]
	v_fma_f64 v[60:61], v[62:63], v[116:117], -v[56:57]
	v_lshlrev_b32_e32 v56, 5, v84
	v_mov_b32_e32 v57, v121
	v_lshl_add_u64 v[56:57], s[6:7], 0, v[56:57]
	v_lshl_add_u64 v[58:59], v[56:57], 0, s[18:19]
	v_add_co_u32_e32 v56, vcc, s20, v56
	v_mul_f64 v[62:63], v[62:63], v[118:119]
	s_nop 0
	v_addc_co_u32_e32 v57, vcc, 0, v57, vcc
	global_load_dwordx4 v[104:107], v[56:57], off offset:2976
	global_load_dwordx4 v[108:111], v[58:59], off offset:16
	v_fmac_f64_e32 v[62:63], v[64:65], v[116:117]
	s_waitcnt vmcnt(1) lgkmcnt(10)
	v_mul_f64 v[56:57], v[50:51], v[106:107]
	v_fma_f64 v[64:65], v[48:49], v[104:105], -v[56:57]
	v_mul_f64 v[66:67], v[48:49], v[106:107]
	s_waitcnt vmcnt(0) lgkmcnt(9)
	v_mul_f64 v[48:49], v[46:47], v[110:111]
	v_fma_f64 v[68:69], v[44:45], v[108:109], -v[48:49]
	v_mul_f64 v[70:71], v[44:45], v[110:111]
	v_lshlrev_b32_e32 v44, 5, v86
	v_mov_b32_e32 v45, v121
	v_lshl_add_u64 v[44:45], s[6:7], 0, v[44:45]
	v_fmac_f64_e32 v[70:71], v[46:47], v[108:109]
	v_lshl_add_u64 v[46:47], v[44:45], 0, s[18:19]
	v_add_co_u32_e32 v44, vcc, s20, v44
	v_fmac_f64_e32 v[66:67], v[50:51], v[104:105]
	s_nop 0
	v_addc_co_u32_e32 v45, vcc, 0, v45, vcc
	global_load_dwordx4 v[96:99], v[44:45], off offset:2976
	global_load_dwordx4 v[100:103], v[46:47], off offset:16
	s_waitcnt vmcnt(1) lgkmcnt(7)
	v_mul_f64 v[44:45], v[42:43], v[98:99]
	v_fma_f64 v[72:73], v[40:41], v[96:97], -v[44:45]
	v_mul_f64 v[74:75], v[40:41], v[98:99]
	s_waitcnt vmcnt(0) lgkmcnt(6)
	v_mul_f64 v[40:41], v[38:39], v[102:103]
	v_fmac_f64_e32 v[74:75], v[42:43], v[96:97]
	v_fma_f64 v[40:41], v[36:37], v[100:101], -v[40:41]
	v_mul_f64 v[42:43], v[36:37], v[102:103]
	v_lshlrev_b32_e32 v36, 5, v80
	v_mov_b32_e32 v37, v121
	v_lshl_add_u64 v[36:37], s[6:7], 0, v[36:37]
	v_fmac_f64_e32 v[42:43], v[38:39], v[100:101]
	v_lshl_add_u64 v[38:39], v[36:37], 0, s[18:19]
	v_add_co_u32_e32 v36, vcc, s20, v36
	s_nop 1
	v_addc_co_u32_e32 v37, vcc, 0, v37, vcc
	global_load_dwordx4 v[88:91], v[36:37], off offset:2976
	global_load_dwordx4 v[92:95], v[38:39], off offset:16
	s_waitcnt vmcnt(1) lgkmcnt(4)
	v_mul_f64 v[36:37], v[34:35], v[90:91]
	v_fma_f64 v[36:37], v[32:33], v[88:89], -v[36:37]
	v_mul_f64 v[32:33], v[32:33], v[90:91]
	v_fmac_f64_e32 v[32:33], v[34:35], v[88:89]
	s_waitcnt vmcnt(0) lgkmcnt(3)
	v_mul_f64 v[34:35], v[30:31], v[94:95]
	v_fma_f64 v[34:35], v[28:29], v[92:93], -v[34:35]
	v_mul_f64 v[28:29], v[28:29], v[94:95]
	v_fmac_f64_e32 v[28:29], v[30:31], v[92:93]
	v_lshlrev_b32_e32 v30, 5, v82
	v_mov_b32_e32 v31, v121
	v_lshl_add_u64 v[30:31], s[6:7], 0, v[30:31]
	v_lshl_add_u64 v[38:39], v[30:31], 0, s[18:19]
	v_add_co_u32_e32 v30, vcc, s20, v30
	s_mov_b64 s[6:7], 0xe3d0
	s_nop 0
	v_addc_co_u32_e32 v31, vcc, 0, v31, vcc
	global_load_dwordx4 v[80:83], v[30:31], off offset:2976
	global_load_dwordx4 v[84:87], v[38:39], off offset:16
	s_waitcnt vmcnt(1) lgkmcnt(1)
	v_mul_f64 v[30:31], v[26:27], v[82:83]
	v_fma_f64 v[30:31], v[24:25], v[80:81], -v[30:31]
	v_mul_f64 v[24:25], v[24:25], v[82:83]
	v_fmac_f64_e32 v[24:25], v[26:27], v[80:81]
	s_waitcnt vmcnt(0) lgkmcnt(0)
	v_mul_f64 v[26:27], v[22:23], v[86:87]
	v_fma_f64 v[26:27], v[20:21], v[84:85], -v[26:27]
	v_mul_f64 v[20:21], v[20:21], v[86:87]
	v_fmac_f64_e32 v[20:21], v[22:23], v[84:85]
	v_add_f64 v[22:23], v[16:17], v[52:53]
	v_add_f64 v[56:57], v[22:23], v[60:61]
	v_add_f64 v[22:23], v[52:53], v[60:61]
	v_fmac_f64_e32 v[16:17], -0.5, v[22:23]
	v_add_f64 v[22:23], v[54:55], -v[62:63]
	v_fma_f64 v[48:49], s[2:3], v[22:23], v[16:17]
	v_fmac_f64_e32 v[16:17], s[4:5], v[22:23]
	v_add_f64 v[22:23], v[18:19], v[54:55]
	v_add_f64 v[58:59], v[22:23], v[62:63]
	v_add_f64 v[22:23], v[54:55], v[62:63]
	v_fmac_f64_e32 v[18:19], -0.5, v[22:23]
	v_add_f64 v[22:23], v[52:53], -v[60:61]
	v_fma_f64 v[50:51], s[4:5], v[22:23], v[18:19]
	;; [unrolled: 7-line block ×10, first 2 shown]
	v_fmac_f64_e32 v[2:3], s[2:3], v[20:21]
	ds_write_b128 v120, v[56:59]
	ds_write_b128 v120, v[48:51] offset:19440
	ds_write_b128 v120, v[16:19] offset:38880
	;; [unrolled: 1-line block ×14, first 2 shown]
	v_lshl_add_u64 v[0:1], v[76:77], 0, s[6:7]
	s_mov_b32 s6, 0xe000
	v_add_co_u32_e32 v6, vcc, s6, v76
	s_waitcnt lgkmcnt(0)
	s_nop 0
	v_addc_co_u32_e32 v7, vcc, 0, v77, vcc
	s_barrier
	global_load_dwordx4 v[6:9], v[6:7], off offset:976
	ds_read_b128 v[2:5], v120
	s_mov_b32 s6, 0x11000
	s_waitcnt vmcnt(0) lgkmcnt(0)
	v_mul_f64 v[10:11], v[4:5], v[8:9]
	v_mul_f64 v[12:13], v[2:3], v[8:9]
	v_fma_f64 v[10:11], v[2:3], v[6:7], -v[10:11]
	v_fmac_f64_e32 v[12:13], v[4:5], v[6:7]
	v_add_co_u32_e32 v6, vcc, s6, v76
	ds_read_b128 v[2:5], v120 offset:11664
	s_nop 0
	v_addc_co_u32_e32 v7, vcc, 0, v77, vcc
	global_load_dwordx4 v[6:9], v[6:7], off offset:352
	ds_write_b128 v120, v[10:13]
	s_mov_b32 s6, 0x13000
	s_waitcnt vmcnt(0) lgkmcnt(1)
	v_mul_f64 v[10:11], v[4:5], v[8:9]
	v_mul_f64 v[12:13], v[2:3], v[8:9]
	v_fma_f64 v[10:11], v[2:3], v[6:7], -v[10:11]
	v_fmac_f64_e32 v[12:13], v[4:5], v[6:7]
	v_add_co_u32_e32 v6, vcc, s6, v76
	ds_read_b128 v[2:5], v120 offset:23328
	s_nop 0
	v_addc_co_u32_e32 v7, vcc, 0, v77, vcc
	global_load_dwordx4 v[6:9], v[6:7], off offset:3824
	ds_write_b128 v120, v[10:13] offset:11664
	s_mov_b32 s6, 0x16000
	s_waitcnt vmcnt(0) lgkmcnt(1)
	v_mul_f64 v[10:11], v[4:5], v[8:9]
	v_mul_f64 v[12:13], v[2:3], v[8:9]
	v_fma_f64 v[10:11], v[2:3], v[6:7], -v[10:11]
	v_fmac_f64_e32 v[12:13], v[4:5], v[6:7]
	v_add_co_u32_e32 v6, vcc, s6, v76
	ds_read_b128 v[2:5], v120 offset:34992
	s_nop 0
	v_addc_co_u32_e32 v7, vcc, 0, v77, vcc
	global_load_dwordx4 v[6:9], v[6:7], off offset:3200
	ds_write_b128 v120, v[10:13] offset:23328
	;; [unrolled: 12-line block ×3, first 2 shown]
	s_mov_b32 s6, 0x12000
	s_waitcnt vmcnt(0) lgkmcnt(1)
	v_mul_f64 v[10:11], v[4:5], v[8:9]
	v_mul_f64 v[12:13], v[2:3], v[8:9]
	v_fma_f64 v[10:11], v[2:3], v[6:7], -v[10:11]
	v_fmac_f64_e32 v[12:13], v[4:5], v[6:7]
	global_load_dwordx4 v[6:9], v[0:1], off offset:3888
	ds_read_b128 v[2:5], v120 offset:3888
	ds_write_b128 v120, v[10:13] offset:46656
	v_add_co_u32_e32 v12, vcc, s6, v76
	s_mov_b32 s6, 0x14000
	s_nop 0
	v_addc_co_u32_e32 v13, vcc, 0, v77, vcc
	s_waitcnt vmcnt(0) lgkmcnt(1)
	v_mul_f64 v[0:1], v[4:5], v[8:9]
	v_fma_f64 v[0:1], v[2:3], v[6:7], -v[0:1]
	v_mul_f64 v[2:3], v[2:3], v[8:9]
	v_fmac_f64_e32 v[2:3], v[4:5], v[6:7]
	global_load_dwordx4 v[4:7], v[12:13], off offset:144
	ds_write_b128 v120, v[0:3] offset:3888
	ds_read_b128 v[0:3], v120 offset:15552
	s_waitcnt vmcnt(0) lgkmcnt(0)
	v_mul_f64 v[8:9], v[2:3], v[6:7]
	v_mul_f64 v[10:11], v[0:1], v[6:7]
	v_fma_f64 v[8:9], v[0:1], v[4:5], -v[8:9]
	v_fmac_f64_e32 v[10:11], v[2:3], v[4:5]
	v_add_co_u32_e32 v4, vcc, s6, v76
	ds_read_b128 v[0:3], v120 offset:27216
	s_nop 0
	v_addc_co_u32_e32 v5, vcc, 0, v77, vcc
	global_load_dwordx4 v[4:7], v[4:5], off offset:3616
	ds_write_b128 v120, v[8:11] offset:15552
	s_mov_b32 s6, 0x17000
	s_waitcnt vmcnt(0) lgkmcnt(1)
	v_mul_f64 v[8:9], v[2:3], v[6:7]
	v_mul_f64 v[10:11], v[0:1], v[6:7]
	v_fma_f64 v[8:9], v[0:1], v[4:5], -v[8:9]
	v_fmac_f64_e32 v[10:11], v[2:3], v[4:5]
	v_add_co_u32_e32 v4, vcc, s6, v76
	ds_read_b128 v[0:3], v120 offset:38880
	s_nop 0
	v_addc_co_u32_e32 v5, vcc, 0, v77, vcc
	global_load_dwordx4 v[4:7], v[4:5], off offset:2992
	ds_write_b128 v120, v[8:11] offset:27216
	s_mov_b32 s6, 0x1a000
	;; [unrolled: 12-line block ×4, first 2 shown]
	s_waitcnt vmcnt(0) lgkmcnt(1)
	v_mul_f64 v[8:9], v[2:3], v[6:7]
	v_mul_f64 v[10:11], v[0:1], v[6:7]
	v_fma_f64 v[8:9], v[0:1], v[4:5], -v[8:9]
	v_fmac_f64_e32 v[10:11], v[2:3], v[4:5]
	global_load_dwordx4 v[4:7], v[12:13], off offset:4032
	ds_read_b128 v[0:3], v120 offset:19440
	ds_write_b128 v120, v[8:11] offset:7776
	s_waitcnt vmcnt(0) lgkmcnt(1)
	v_mul_f64 v[8:9], v[2:3], v[6:7]
	v_mul_f64 v[10:11], v[0:1], v[6:7]
	v_fma_f64 v[8:9], v[0:1], v[4:5], -v[8:9]
	v_fmac_f64_e32 v[10:11], v[2:3], v[4:5]
	v_add_co_u32_e32 v4, vcc, s6, v76
	ds_read_b128 v[0:3], v120 offset:31104
	s_nop 0
	v_addc_co_u32_e32 v5, vcc, 0, v77, vcc
	global_load_dwordx4 v[4:7], v[4:5], off offset:3408
	ds_write_b128 v120, v[8:11] offset:19440
	s_mov_b32 s6, 0x18000
	s_waitcnt vmcnt(0) lgkmcnt(1)
	v_mul_f64 v[8:9], v[2:3], v[6:7]
	v_mul_f64 v[10:11], v[0:1], v[6:7]
	v_fma_f64 v[8:9], v[0:1], v[4:5], -v[8:9]
	v_fmac_f64_e32 v[10:11], v[2:3], v[4:5]
	v_add_co_u32_e32 v4, vcc, s6, v76
	ds_read_b128 v[0:3], v120 offset:42768
	s_nop 0
	v_addc_co_u32_e32 v5, vcc, 0, v77, vcc
	global_load_dwordx4 v[4:7], v[4:5], off offset:2784
	ds_write_b128 v120, v[8:11] offset:31104
	s_mov_b32 s6, 0x1b000
	s_waitcnt vmcnt(0) lgkmcnt(1)
	v_mul_f64 v[8:9], v[2:3], v[6:7]
	v_mul_f64 v[10:11], v[0:1], v[6:7]
	v_fma_f64 v[8:9], v[0:1], v[4:5], -v[8:9]
	v_fmac_f64_e32 v[10:11], v[2:3], v[4:5]
	v_add_co_u32_e32 v4, vcc, s6, v76
	ds_read_b128 v[0:3], v120 offset:54432
	s_nop 0
	v_addc_co_u32_e32 v5, vcc, 0, v77, vcc
	global_load_dwordx4 v[4:7], v[4:5], off offset:2160
	ds_write_b128 v120, v[8:11] offset:42768
	s_waitcnt vmcnt(0) lgkmcnt(1)
	v_mul_f64 v[8:9], v[2:3], v[6:7]
	v_mul_f64 v[10:11], v[0:1], v[6:7]
	v_fma_f64 v[8:9], v[0:1], v[4:5], -v[8:9]
	v_fmac_f64_e32 v[10:11], v[2:3], v[4:5]
	ds_write_b128 v120, v[8:11] offset:54432
	s_waitcnt lgkmcnt(0)
	s_barrier
	ds_read_b128 v[4:7], v120
	ds_read_b128 v[24:27], v120 offset:11664
	ds_read_b128 v[68:71], v120 offset:23328
	;; [unrolled: 1-line block ×14, first 2 shown]
	s_waitcnt lgkmcnt(13)
	v_add_f64 v[12:13], v[4:5], v[24:25]
	s_waitcnt lgkmcnt(12)
	v_add_f64 v[12:13], v[12:13], v[68:69]
	;; [unrolled: 2-line block ×4, first 2 shown]
	v_add_f64 v[12:13], v[68:69], v[0:1]
	v_fma_f64 v[12:13], -0.5, v[12:13], v[4:5]
	v_add_f64 v[14:15], v[26:27], -v[22:23]
	v_fma_f64 v[44:45], s[16:17], v[14:15], v[12:13]
	v_add_f64 v[46:47], v[70:71], -v[2:3]
	v_add_f64 v[48:49], v[24:25], -v[68:69]
	;; [unrolled: 1-line block ×3, first 2 shown]
	v_fmac_f64_e32 v[12:13], s[8:9], v[14:15]
	v_fmac_f64_e32 v[44:45], s[12:13], v[46:47]
	v_add_f64 v[48:49], v[48:49], v[50:51]
	v_fmac_f64_e32 v[12:13], s[14:15], v[46:47]
	v_fmac_f64_e32 v[44:45], s[10:11], v[48:49]
	v_fmac_f64_e32 v[12:13], s[10:11], v[48:49]
	v_add_f64 v[48:49], v[24:25], v[20:21]
	v_fmac_f64_e32 v[4:5], -0.5, v[48:49]
	v_fma_f64 v[48:49], s[8:9], v[46:47], v[4:5]
	v_fmac_f64_e32 v[4:5], s[16:17], v[46:47]
	v_fmac_f64_e32 v[48:49], s[12:13], v[14:15]
	;; [unrolled: 1-line block ×3, first 2 shown]
	v_add_f64 v[14:15], v[6:7], v[26:27]
	v_add_f64 v[14:15], v[14:15], v[70:71]
	v_add_f64 v[50:51], v[68:69], -v[24:25]
	v_add_f64 v[74:75], v[0:1], -v[20:21]
	v_add_f64 v[14:15], v[14:15], v[2:3]
	v_add_f64 v[50:51], v[50:51], v[74:75]
	;; [unrolled: 1-line block ×4, first 2 shown]
	v_fma_f64 v[14:15], -0.5, v[14:15], v[6:7]
	v_add_f64 v[20:21], v[24:25], -v[20:21]
	v_fmac_f64_e32 v[48:49], s[10:11], v[50:51]
	v_fmac_f64_e32 v[4:5], s[10:11], v[50:51]
	v_fma_f64 v[46:47], s[8:9], v[20:21], v[14:15]
	v_add_f64 v[0:1], v[68:69], -v[0:1]
	v_add_f64 v[24:25], v[26:27], -v[70:71]
	;; [unrolled: 1-line block ×3, first 2 shown]
	v_fmac_f64_e32 v[14:15], s[16:17], v[20:21]
	v_fmac_f64_e32 v[46:47], s[14:15], v[0:1]
	v_add_f64 v[24:25], v[24:25], v[50:51]
	v_fmac_f64_e32 v[14:15], s[12:13], v[0:1]
	v_fmac_f64_e32 v[46:47], s[10:11], v[24:25]
	;; [unrolled: 1-line block ×3, first 2 shown]
	v_add_f64 v[24:25], v[26:27], v[22:23]
	v_fmac_f64_e32 v[6:7], -0.5, v[24:25]
	v_fma_f64 v[50:51], s[16:17], v[0:1], v[6:7]
	v_fmac_f64_e32 v[6:7], s[8:9], v[0:1]
	s_waitcnt lgkmcnt(8)
	v_add_f64 v[0:1], v[8:9], v[32:33]
	s_waitcnt lgkmcnt(7)
	v_add_f64 v[0:1], v[0:1], v[28:29]
	v_add_f64 v[24:25], v[70:71], -v[26:27]
	v_add_f64 v[2:3], v[2:3], -v[22:23]
	s_waitcnt lgkmcnt(6)
	v_add_f64 v[0:1], v[0:1], v[40:41]
	v_fmac_f64_e32 v[50:51], s[14:15], v[20:21]
	v_add_f64 v[2:3], v[24:25], v[2:3]
	v_fmac_f64_e32 v[6:7], s[12:13], v[20:21]
	s_waitcnt lgkmcnt(5)
	v_add_f64 v[68:69], v[0:1], v[36:37]
	v_add_f64 v[0:1], v[28:29], v[40:41]
	v_fmac_f64_e32 v[50:51], s[10:11], v[2:3]
	v_fmac_f64_e32 v[6:7], s[10:11], v[2:3]
	v_fma_f64 v[0:1], -0.5, v[0:1], v[8:9]
	v_add_f64 v[2:3], v[34:35], -v[38:39]
	v_fma_f64 v[20:21], s[16:17], v[2:3], v[0:1]
	v_add_f64 v[22:23], v[30:31], -v[42:43]
	v_add_f64 v[24:25], v[32:33], -v[28:29]
	;; [unrolled: 1-line block ×3, first 2 shown]
	v_fmac_f64_e32 v[0:1], s[8:9], v[2:3]
	v_fmac_f64_e32 v[20:21], s[12:13], v[22:23]
	v_add_f64 v[24:25], v[24:25], v[26:27]
	v_fmac_f64_e32 v[0:1], s[14:15], v[22:23]
	v_fmac_f64_e32 v[20:21], s[10:11], v[24:25]
	v_fmac_f64_e32 v[0:1], s[10:11], v[24:25]
	v_add_f64 v[24:25], v[32:33], v[36:37]
	v_fmac_f64_e32 v[8:9], -0.5, v[24:25]
	v_fma_f64 v[24:25], s[8:9], v[22:23], v[8:9]
	v_fmac_f64_e32 v[8:9], s[16:17], v[22:23]
	v_fmac_f64_e32 v[24:25], s[12:13], v[2:3]
	;; [unrolled: 1-line block ×3, first 2 shown]
	v_add_f64 v[2:3], v[10:11], v[34:35]
	v_add_f64 v[2:3], v[2:3], v[30:31]
	v_add_f64 v[26:27], v[28:29], -v[32:33]
	v_add_f64 v[70:71], v[40:41], -v[36:37]
	v_add_f64 v[2:3], v[2:3], v[42:43]
	v_add_f64 v[26:27], v[26:27], v[70:71]
	;; [unrolled: 1-line block ×4, first 2 shown]
	v_fma_f64 v[2:3], -0.5, v[2:3], v[10:11]
	v_add_f64 v[32:33], v[32:33], -v[36:37]
	v_fmac_f64_e32 v[24:25], s[10:11], v[26:27]
	v_fmac_f64_e32 v[8:9], s[10:11], v[26:27]
	v_fma_f64 v[22:23], s[8:9], v[32:33], v[2:3]
	v_add_f64 v[28:29], v[28:29], -v[40:41]
	v_add_f64 v[26:27], v[34:35], -v[30:31]
	;; [unrolled: 1-line block ×3, first 2 shown]
	v_fmac_f64_e32 v[2:3], s[16:17], v[32:33]
	v_fmac_f64_e32 v[22:23], s[14:15], v[28:29]
	v_add_f64 v[26:27], v[26:27], v[36:37]
	v_fmac_f64_e32 v[2:3], s[12:13], v[28:29]
	v_fmac_f64_e32 v[22:23], s[10:11], v[26:27]
	;; [unrolled: 1-line block ×3, first 2 shown]
	v_add_f64 v[26:27], v[34:35], v[38:39]
	v_fmac_f64_e32 v[10:11], -0.5, v[26:27]
	v_fma_f64 v[26:27], s[16:17], v[28:29], v[10:11]
	v_fmac_f64_e32 v[10:11], s[8:9], v[28:29]
	s_waitcnt lgkmcnt(3)
	v_add_f64 v[28:29], v[16:17], v[56:57]
	s_waitcnt lgkmcnt(2)
	v_add_f64 v[28:29], v[28:29], v[52:53]
	v_add_f64 v[30:31], v[30:31], -v[34:35]
	v_add_f64 v[34:35], v[42:43], -v[38:39]
	s_waitcnt lgkmcnt(1)
	v_add_f64 v[28:29], v[28:29], v[64:65]
	v_fmac_f64_e32 v[26:27], s[14:15], v[32:33]
	v_add_f64 v[30:31], v[30:31], v[34:35]
	v_fmac_f64_e32 v[10:11], s[12:13], v[32:33]
	s_waitcnt lgkmcnt(0)
	v_add_f64 v[40:41], v[28:29], v[60:61]
	v_add_f64 v[28:29], v[52:53], v[64:65]
	v_fmac_f64_e32 v[26:27], s[10:11], v[30:31]
	v_fmac_f64_e32 v[10:11], s[10:11], v[30:31]
	v_fma_f64 v[28:29], -0.5, v[28:29], v[16:17]
	v_add_f64 v[30:31], v[58:59], -v[62:63]
	v_fma_f64 v[36:37], s[16:17], v[30:31], v[28:29]
	v_add_f64 v[34:35], v[54:55], -v[66:67]
	v_add_f64 v[32:33], v[56:57], -v[52:53]
	;; [unrolled: 1-line block ×3, first 2 shown]
	v_fmac_f64_e32 v[28:29], s[8:9], v[30:31]
	v_fmac_f64_e32 v[36:37], s[12:13], v[34:35]
	v_add_f64 v[32:33], v[32:33], v[38:39]
	v_fmac_f64_e32 v[28:29], s[14:15], v[34:35]
	v_fmac_f64_e32 v[36:37], s[10:11], v[32:33]
	;; [unrolled: 1-line block ×3, first 2 shown]
	v_add_f64 v[32:33], v[56:57], v[60:61]
	v_fmac_f64_e32 v[16:17], -0.5, v[32:33]
	v_fma_f64 v[32:33], s[8:9], v[34:35], v[16:17]
	v_fmac_f64_e32 v[16:17], s[16:17], v[34:35]
	v_fmac_f64_e32 v[32:33], s[12:13], v[30:31]
	;; [unrolled: 1-line block ×3, first 2 shown]
	v_add_f64 v[30:31], v[18:19], v[58:59]
	v_add_f64 v[30:31], v[30:31], v[54:55]
	v_add_f64 v[38:39], v[52:53], -v[56:57]
	v_add_f64 v[42:43], v[64:65], -v[60:61]
	v_add_f64 v[30:31], v[30:31], v[66:67]
	v_add_f64 v[38:39], v[38:39], v[42:43]
	;; [unrolled: 1-line block ×4, first 2 shown]
	v_fma_f64 v[30:31], -0.5, v[30:31], v[18:19]
	v_add_f64 v[56:57], v[56:57], -v[60:61]
	v_fmac_f64_e32 v[32:33], s[10:11], v[38:39]
	v_fmac_f64_e32 v[16:17], s[10:11], v[38:39]
	v_fma_f64 v[38:39], s[8:9], v[56:57], v[30:31]
	v_add_f64 v[52:53], v[52:53], -v[64:65]
	v_add_f64 v[34:35], v[58:59], -v[54:55]
	;; [unrolled: 1-line block ×3, first 2 shown]
	v_fmac_f64_e32 v[30:31], s[16:17], v[56:57]
	v_fmac_f64_e32 v[38:39], s[14:15], v[52:53]
	v_add_f64 v[34:35], v[34:35], v[60:61]
	v_fmac_f64_e32 v[30:31], s[12:13], v[52:53]
	v_fmac_f64_e32 v[38:39], s[10:11], v[34:35]
	;; [unrolled: 1-line block ×3, first 2 shown]
	v_add_f64 v[34:35], v[58:59], v[62:63]
	v_fmac_f64_e32 v[18:19], -0.5, v[34:35]
	v_fma_f64 v[34:35], s[16:17], v[52:53], v[18:19]
	v_add_f64 v[54:55], v[54:55], -v[58:59]
	v_add_f64 v[58:59], v[66:67], -v[62:63]
	v_fmac_f64_e32 v[18:19], s[8:9], v[52:53]
	v_fmac_f64_e32 v[34:35], s[14:15], v[56:57]
	v_add_f64 v[54:55], v[54:55], v[58:59]
	v_fmac_f64_e32 v[18:19], s[12:13], v[56:57]
	s_barrier
	ds_write_b128 v127, v[72:75]
	ds_write_b128 v127, v[44:47] offset:16
	ds_write_b128 v127, v[48:51] offset:32
	;; [unrolled: 1-line block ×4, first 2 shown]
	v_accvgpr_read_b32 v4, a138
	v_accvgpr_read_b32 v62, a102
	v_fmac_f64_e32 v[34:35], s[10:11], v[54:55]
	v_fmac_f64_e32 v[18:19], s[10:11], v[54:55]
	ds_write_b128 v4, v[68:71]
	ds_write_b128 v4, v[20:23] offset:16
	ds_write_b128 v4, v[24:27] offset:32
	ds_write_b128 v4, v[8:11] offset:48
	ds_write_b128 v4, v[0:3] offset:64
	v_accvgpr_read_b32 v0, a92
	v_accvgpr_read_b32 v64, a104
	;; [unrolled: 1-line block ×3, first 2 shown]
	ds_write_b128 v0, v[40:43]
	ds_write_b128 v0, v[36:39] offset:16
	ds_write_b128 v0, v[32:35] offset:32
	;; [unrolled: 1-line block ×4, first 2 shown]
	s_waitcnt lgkmcnt(0)
	s_barrier
	ds_read_b128 v[16:19], v120
	ds_read_b128 v[20:23], v120 offset:19440
	ds_read_b128 v[24:27], v120 offset:38880
	;; [unrolled: 1-line block ×14, first 2 shown]
	v_accvgpr_read_b32 v63, a103
	s_waitcnt lgkmcnt(13)
	v_mul_f64 v[60:61], v[64:65], v[22:23]
	v_fmac_f64_e32 v[60:61], v[62:63], v[20:21]
	v_mul_f64 v[20:21], v[64:65], v[20:21]
	v_fma_f64 v[20:21], v[62:63], v[22:23], -v[20:21]
	v_accvgpr_read_b32 v62, a94
	v_accvgpr_read_b32 v64, a96
	v_accvgpr_read_b32 v65, a97
	v_accvgpr_read_b32 v63, a95
	s_waitcnt lgkmcnt(12)
	v_mul_f64 v[22:23], v[64:65], v[26:27]
	v_fmac_f64_e32 v[22:23], v[62:63], v[24:25]
	v_mul_f64 v[24:25], v[64:65], v[24:25]
	v_fma_f64 v[24:25], v[62:63], v[26:27], -v[24:25]
	v_accvgpr_read_b32 v62, a124
	v_accvgpr_read_b32 v64, a126
	v_accvgpr_read_b32 v65, a127
	;; [unrolled: 9-line block ×3, first 2 shown]
	v_accvgpr_read_b32 v63, a121
	s_waitcnt lgkmcnt(9)
	v_mul_f64 v[30:31], v[64:65], v[34:35]
	v_fmac_f64_e32 v[30:31], v[62:63], v[32:33]
	v_mul_f64 v[32:33], v[64:65], v[32:33]
	v_fma_f64 v[32:33], v[62:63], v[34:35], -v[32:33]
	s_waitcnt lgkmcnt(7)
	v_mul_f64 v[34:35], v[142:143], v[38:39]
	v_fmac_f64_e32 v[34:35], v[140:141], v[36:37]
	v_mul_f64 v[36:37], v[142:143], v[36:37]
	v_fma_f64 v[38:39], v[140:141], v[38:39], -v[36:37]
	s_waitcnt lgkmcnt(6)
	v_mul_f64 v[36:37], v[134:135], v[40:41]
	v_fma_f64 v[64:65], v[132:133], v[42:43], -v[36:37]
	s_waitcnt lgkmcnt(4)
	;; [unrolled: 3-line block ×4, first 2 shown]
	v_mul_f64 v[36:37], v[174:175], v[52:53]
	v_mul_f64 v[62:63], v[134:135], v[42:43]
	v_fma_f64 v[76:77], v[172:173], v[54:55], -v[36:37]
	s_waitcnt lgkmcnt(0)
	v_mul_f64 v[36:37], v[166:167], v[56:57]
	v_fmac_f64_e32 v[62:63], v[132:133], v[40:41]
	v_mul_f64 v[132:133], v[166:167], v[58:59]
	v_fma_f64 v[134:135], v[164:165], v[58:59], -v[36:37]
	v_add_f64 v[36:37], v[16:17], v[60:61]
	v_fmac_f64_e32 v[132:133], v[164:165], v[56:57]
	v_add_f64 v[56:57], v[36:37], v[22:23]
	v_add_f64 v[36:37], v[60:61], v[22:23]
	v_mul_f64 v[70:71], v[150:151], v[50:51]
	v_fmac_f64_e32 v[16:17], -0.5, v[36:37]
	v_add_f64 v[36:37], v[20:21], -v[24:25]
	v_fmac_f64_e32 v[70:71], v[148:149], v[48:49]
	v_fma_f64 v[48:49], s[4:5], v[36:37], v[16:17]
	v_fmac_f64_e32 v[16:17], s[2:3], v[36:37]
	v_add_f64 v[36:37], v[18:19], v[20:21]
	v_add_f64 v[20:21], v[20:21], v[24:25]
	v_fmac_f64_e32 v[18:19], -0.5, v[20:21]
	v_add_f64 v[20:21], v[60:61], -v[22:23]
	v_mul_f64 v[74:75], v[174:175], v[54:55]
	v_fma_f64 v[50:51], s[2:3], v[20:21], v[18:19]
	v_fmac_f64_e32 v[18:19], s[4:5], v[20:21]
	v_add_f64 v[20:21], v[12:13], v[26:27]
	v_fmac_f64_e32 v[74:75], v[172:173], v[52:53]
	v_add_f64 v[52:53], v[20:21], v[30:31]
	v_add_f64 v[20:21], v[26:27], v[30:31]
	v_mul_f64 v[66:67], v[158:159], v[46:47]
	v_fmac_f64_e32 v[12:13], -0.5, v[20:21]
	v_add_f64 v[20:21], v[28:29], -v[32:33]
	v_fmac_f64_e32 v[66:67], v[156:157], v[44:45]
	v_fma_f64 v[44:45], s[4:5], v[20:21], v[12:13]
	v_fmac_f64_e32 v[12:13], s[2:3], v[20:21]
	v_add_f64 v[20:21], v[14:15], v[28:29]
	v_add_f64 v[54:55], v[20:21], v[32:33]
	;; [unrolled: 1-line block ×3, first 2 shown]
	v_fmac_f64_e32 v[14:15], -0.5, v[20:21]
	v_add_f64 v[20:21], v[26:27], -v[30:31]
	v_fma_f64 v[46:47], s[2:3], v[20:21], v[14:15]
	v_fmac_f64_e32 v[14:15], s[4:5], v[20:21]
	v_add_f64 v[20:21], v[8:9], v[34:35]
	v_add_f64 v[40:41], v[20:21], v[62:63]
	;; [unrolled: 1-line block ×3, first 2 shown]
	v_fmac_f64_e32 v[8:9], -0.5, v[20:21]
	v_add_f64 v[20:21], v[38:39], -v[64:65]
	v_add_f64 v[58:59], v[36:37], v[24:25]
	v_fma_f64 v[36:37], s[4:5], v[20:21], v[8:9]
	v_fmac_f64_e32 v[8:9], s[2:3], v[20:21]
	v_add_f64 v[20:21], v[10:11], v[38:39]
	v_add_f64 v[42:43], v[20:21], v[64:65]
	v_add_f64 v[20:21], v[38:39], v[64:65]
	v_fmac_f64_e32 v[10:11], -0.5, v[20:21]
	v_add_f64 v[20:21], v[34:35], -v[62:63]
	v_fma_f64 v[38:39], s[2:3], v[20:21], v[10:11]
	v_fmac_f64_e32 v[10:11], s[4:5], v[20:21]
	v_add_f64 v[20:21], v[4:5], v[66:67]
	v_add_f64 v[32:33], v[20:21], v[70:71]
	v_add_f64 v[20:21], v[66:67], v[70:71]
	v_fmac_f64_e32 v[4:5], -0.5, v[20:21]
	v_add_f64 v[20:21], v[68:69], -v[72:73]
	;; [unrolled: 7-line block ×5, first 2 shown]
	v_fma_f64 v[22:23], s[2:3], v[60:61], v[2:3]
	v_fmac_f64_e32 v[2:3], s[4:5], v[60:61]
	v_accvgpr_read_b32 v60, a139
	s_barrier
	ds_write_b128 v60, v[56:59]
	ds_write_b128 v60, v[48:51] offset:80
	ds_write_b128 v60, v[16:19] offset:160
	v_accvgpr_read_b32 v16, a137
	ds_write_b128 v16, v[52:55]
	ds_write_b128 v16, v[44:47] offset:80
	ds_write_b128 v16, v[12:15] offset:160
	v_accvgpr_read_b32 v12, a119
	;; [unrolled: 4-line block ×3, first 2 shown]
	v_accvgpr_read_b32 v62, a88
	ds_write_b128 v8, v[32:35]
	ds_write_b128 v8, v[28:31] offset:80
	ds_write_b128 v8, v[4:7] offset:160
	v_accvgpr_read_b32 v4, a74
	v_accvgpr_read_b32 v64, a90
	;; [unrolled: 1-line block ×3, first 2 shown]
	ds_write_b128 v4, v[24:27]
	ds_write_b128 v4, v[20:23] offset:80
	ds_write_b128 v4, v[0:3] offset:160
	s_waitcnt lgkmcnt(0)
	s_barrier
	ds_read_b128 v[16:19], v120
	ds_read_b128 v[20:23], v120 offset:19440
	ds_read_b128 v[24:27], v120 offset:38880
	;; [unrolled: 1-line block ×14, first 2 shown]
	v_accvgpr_read_b32 v63, a89
	s_waitcnt lgkmcnt(13)
	v_mul_f64 v[60:61], v[64:65], v[22:23]
	v_fmac_f64_e32 v[60:61], v[62:63], v[20:21]
	v_mul_f64 v[20:21], v[64:65], v[20:21]
	v_fma_f64 v[20:21], v[62:63], v[22:23], -v[20:21]
	v_accvgpr_read_b32 v62, a80
	v_accvgpr_read_b32 v64, a82
	v_accvgpr_read_b32 v65, a83
	v_accvgpr_read_b32 v63, a81
	s_waitcnt lgkmcnt(12)
	v_mul_f64 v[22:23], v[64:65], v[26:27]
	v_fmac_f64_e32 v[22:23], v[62:63], v[24:25]
	v_mul_f64 v[24:25], v[64:65], v[24:25]
	v_fma_f64 v[24:25], v[62:63], v[26:27], -v[24:25]
	v_accvgpr_read_b32 v62, a106
	v_accvgpr_read_b32 v64, a108
	v_accvgpr_read_b32 v65, a109
	;; [unrolled: 9-line block ×4, first 2 shown]
	v_accvgpr_read_b32 v63, a133
	s_waitcnt lgkmcnt(7)
	v_mul_f64 v[34:35], v[64:65], v[38:39]
	v_fmac_f64_e32 v[34:35], v[62:63], v[36:37]
	v_mul_f64 v[36:37], v[64:65], v[36:37]
	v_accvgpr_read_b32 v64, a128
	v_accvgpr_read_b32 v66, a130
	;; [unrolled: 1-line block ×3, first 2 shown]
	v_fma_f64 v[38:39], v[62:63], v[38:39], -v[36:37]
	v_accvgpr_read_b32 v65, a129
	s_waitcnt lgkmcnt(6)
	v_mul_f64 v[62:63], v[66:67], v[42:43]
	v_mul_f64 v[36:37], v[66:67], v[40:41]
	v_fmac_f64_e32 v[62:63], v[64:65], v[40:41]
	v_fma_f64 v[64:65], v[64:65], v[42:43], -v[36:37]
	s_waitcnt lgkmcnt(4)
	v_mul_f64 v[36:37], v[146:147], v[44:45]
	v_fma_f64 v[68:69], v[144:145], v[46:47], -v[36:37]
	s_waitcnt lgkmcnt(3)
	v_mul_f64 v[36:37], v[138:139], v[48:49]
	;; [unrolled: 3-line block ×4, first 2 shown]
	v_mul_f64 v[132:133], v[154:155], v[58:59]
	v_fma_f64 v[134:135], v[152:153], v[58:59], -v[36:37]
	v_add_f64 v[36:37], v[16:17], v[60:61]
	v_fmac_f64_e32 v[132:133], v[152:153], v[56:57]
	v_add_f64 v[56:57], v[36:37], v[22:23]
	v_add_f64 v[36:37], v[60:61], v[22:23]
	v_mul_f64 v[70:71], v[138:139], v[50:51]
	v_fmac_f64_e32 v[16:17], -0.5, v[36:37]
	v_add_f64 v[36:37], v[20:21], -v[24:25]
	v_fmac_f64_e32 v[70:71], v[136:137], v[48:49]
	v_fma_f64 v[48:49], s[4:5], v[36:37], v[16:17]
	v_fmac_f64_e32 v[16:17], s[2:3], v[36:37]
	v_add_f64 v[36:37], v[18:19], v[20:21]
	v_add_f64 v[20:21], v[20:21], v[24:25]
	v_fmac_f64_e32 v[18:19], -0.5, v[20:21]
	v_add_f64 v[20:21], v[60:61], -v[22:23]
	v_mul_f64 v[74:75], v[162:163], v[54:55]
	v_fma_f64 v[50:51], s[2:3], v[20:21], v[18:19]
	v_fmac_f64_e32 v[18:19], s[4:5], v[20:21]
	v_add_f64 v[20:21], v[12:13], v[26:27]
	v_fmac_f64_e32 v[74:75], v[160:161], v[52:53]
	v_add_f64 v[52:53], v[20:21], v[30:31]
	v_add_f64 v[20:21], v[26:27], v[30:31]
	v_mul_f64 v[66:67], v[146:147], v[46:47]
	v_fmac_f64_e32 v[12:13], -0.5, v[20:21]
	v_add_f64 v[20:21], v[28:29], -v[32:33]
	v_fmac_f64_e32 v[66:67], v[144:145], v[44:45]
	v_fma_f64 v[44:45], s[4:5], v[20:21], v[12:13]
	v_fmac_f64_e32 v[12:13], s[2:3], v[20:21]
	v_add_f64 v[20:21], v[14:15], v[28:29]
	v_add_f64 v[54:55], v[20:21], v[32:33]
	;; [unrolled: 1-line block ×3, first 2 shown]
	v_fmac_f64_e32 v[14:15], -0.5, v[20:21]
	v_add_f64 v[20:21], v[26:27], -v[30:31]
	v_fma_f64 v[46:47], s[2:3], v[20:21], v[14:15]
	v_fmac_f64_e32 v[14:15], s[4:5], v[20:21]
	v_add_f64 v[20:21], v[8:9], v[34:35]
	v_add_f64 v[40:41], v[20:21], v[62:63]
	;; [unrolled: 1-line block ×3, first 2 shown]
	v_fmac_f64_e32 v[8:9], -0.5, v[20:21]
	v_add_f64 v[20:21], v[38:39], -v[64:65]
	v_add_f64 v[58:59], v[36:37], v[24:25]
	v_fma_f64 v[36:37], s[4:5], v[20:21], v[8:9]
	v_fmac_f64_e32 v[8:9], s[2:3], v[20:21]
	v_add_f64 v[20:21], v[10:11], v[38:39]
	v_add_f64 v[42:43], v[20:21], v[64:65]
	v_add_f64 v[20:21], v[38:39], v[64:65]
	v_fmac_f64_e32 v[10:11], -0.5, v[20:21]
	v_add_f64 v[20:21], v[34:35], -v[62:63]
	v_fma_f64 v[38:39], s[2:3], v[20:21], v[10:11]
	v_fmac_f64_e32 v[10:11], s[4:5], v[20:21]
	v_add_f64 v[20:21], v[4:5], v[66:67]
	v_add_f64 v[32:33], v[20:21], v[70:71]
	v_add_f64 v[20:21], v[66:67], v[70:71]
	v_fmac_f64_e32 v[4:5], -0.5, v[20:21]
	v_add_f64 v[20:21], v[68:69], -v[72:73]
	;; [unrolled: 7-line block ×5, first 2 shown]
	v_fma_f64 v[22:23], s[2:3], v[60:61], v[2:3]
	v_fmac_f64_e32 v[2:3], s[4:5], v[60:61]
	v_accvgpr_read_b32 v60, a136
	s_barrier
	ds_write_b128 v60, v[56:59]
	ds_write_b128 v60, v[48:51] offset:240
	ds_write_b128 v60, v[16:19] offset:480
	v_accvgpr_read_b32 v16, a118
	ds_write_b128 v16, v[52:55]
	ds_write_b128 v16, v[44:47] offset:240
	ds_write_b128 v16, v[12:15] offset:480
	v_accvgpr_read_b32 v12, a75
	;; [unrolled: 4-line block ×3, first 2 shown]
	v_accvgpr_read_b32 v62, a70
	ds_write_b128 v8, v[32:35]
	ds_write_b128 v8, v[28:31] offset:240
	ds_write_b128 v8, v[4:7] offset:480
	v_accvgpr_read_b32 v4, a64
	v_accvgpr_read_b32 v64, a72
	v_accvgpr_read_b32 v65, a73
	ds_write_b128 v4, v[24:27]
	ds_write_b128 v4, v[20:23] offset:240
	ds_write_b128 v4, v[0:3] offset:480
	s_waitcnt lgkmcnt(0)
	s_barrier
	ds_read_b128 v[16:19], v120
	ds_read_b128 v[20:23], v120 offset:19440
	ds_read_b128 v[24:27], v120 offset:38880
	;; [unrolled: 1-line block ×14, first 2 shown]
	v_accvgpr_read_b32 v63, a71
	s_waitcnt lgkmcnt(13)
	v_mul_f64 v[60:61], v[64:65], v[22:23]
	v_fmac_f64_e32 v[60:61], v[62:63], v[20:21]
	v_mul_f64 v[20:21], v[64:65], v[20:21]
	v_fma_f64 v[20:21], v[62:63], v[22:23], -v[20:21]
	v_accvgpr_read_b32 v62, a66
	v_accvgpr_read_b32 v64, a68
	v_accvgpr_read_b32 v65, a69
	v_accvgpr_read_b32 v63, a67
	s_waitcnt lgkmcnt(12)
	v_mul_f64 v[22:23], v[64:65], v[26:27]
	v_fmac_f64_e32 v[22:23], v[62:63], v[24:25]
	v_mul_f64 v[24:25], v[64:65], v[24:25]
	v_fma_f64 v[24:25], v[62:63], v[26:27], -v[24:25]
	v_accvgpr_read_b32 v62, a84
	v_accvgpr_read_b32 v64, a86
	v_accvgpr_read_b32 v65, a87
	v_accvgpr_read_b32 v63, a85
	s_waitcnt lgkmcnt(10)
	v_mul_f64 v[26:27], v[64:65], v[30:31]
	v_fmac_f64_e32 v[26:27], v[62:63], v[28:29]
	v_mul_f64 v[28:29], v[64:65], v[28:29]
	v_fma_f64 v[28:29], v[62:63], v[30:31], -v[28:29]
	v_accvgpr_read_b32 v62, a76
	v_accvgpr_read_b32 v64, a78
	v_accvgpr_read_b32 v65, a79
	v_accvgpr_read_b32 v63, a77
	s_waitcnt lgkmcnt(9)
	v_mul_f64 v[30:31], v[64:65], v[34:35]
	v_fmac_f64_e32 v[30:31], v[62:63], v[32:33]
	v_mul_f64 v[32:33], v[64:65], v[32:33]
	v_fma_f64 v[32:33], v[62:63], v[34:35], -v[32:33]
	v_accvgpr_read_b32 v62, a114
	v_accvgpr_read_b32 v64, a116
	v_accvgpr_read_b32 v65, a117
	v_accvgpr_read_b32 v63, a115
	s_waitcnt lgkmcnt(7)
	v_mul_f64 v[34:35], v[64:65], v[38:39]
	v_fmac_f64_e32 v[34:35], v[62:63], v[36:37]
	v_mul_f64 v[36:37], v[64:65], v[36:37]
	v_accvgpr_read_b32 v64, a110
	v_accvgpr_read_b32 v66, a112
	;; [unrolled: 1-line block ×3, first 2 shown]
	v_fma_f64 v[38:39], v[62:63], v[38:39], -v[36:37]
	v_accvgpr_read_b32 v65, a111
	s_waitcnt lgkmcnt(6)
	v_mul_f64 v[62:63], v[66:67], v[42:43]
	v_mul_f64 v[36:37], v[66:67], v[40:41]
	v_fmac_f64_e32 v[62:63], v[64:65], v[40:41]
	v_fma_f64 v[64:65], v[64:65], v[42:43], -v[36:37]
	v_accvgpr_read_b32 v40, a142
	s_waitcnt lgkmcnt(4)
	v_mul_f64 v[36:37], v[130:131], v[44:45]
	v_accvgpr_read_b32 v42, a144
	v_accvgpr_read_b32 v43, a145
	v_fma_f64 v[68:69], v[128:129], v[46:47], -v[36:37]
	v_accvgpr_read_b32 v41, a143
	s_waitcnt lgkmcnt(3)
	v_mul_f64 v[36:37], v[42:43], v[48:49]
	v_fma_f64 v[72:73], v[40:41], v[50:51], -v[36:37]
	s_waitcnt lgkmcnt(1)
	v_mul_f64 v[36:37], v[178:179], v[52:53]
	v_mul_f64 v[66:67], v[130:131], v[46:47]
	v_fma_f64 v[76:77], v[176:177], v[54:55], -v[36:37]
	s_waitcnt lgkmcnt(0)
	v_mul_f64 v[36:37], v[170:171], v[56:57]
	v_fmac_f64_e32 v[66:67], v[128:129], v[44:45]
	v_mul_f64 v[128:129], v[170:171], v[58:59]
	v_fma_f64 v[130:131], v[168:169], v[58:59], -v[36:37]
	v_add_f64 v[36:37], v[16:17], v[60:61]
	v_fmac_f64_e32 v[128:129], v[168:169], v[56:57]
	v_add_f64 v[56:57], v[36:37], v[22:23]
	v_add_f64 v[36:37], v[60:61], v[22:23]
	v_mul_f64 v[74:75], v[178:179], v[54:55]
	v_fmac_f64_e32 v[16:17], -0.5, v[36:37]
	v_add_f64 v[36:37], v[20:21], -v[24:25]
	v_fmac_f64_e32 v[74:75], v[176:177], v[52:53]
	v_fma_f64 v[52:53], s[4:5], v[36:37], v[16:17]
	v_fmac_f64_e32 v[16:17], s[2:3], v[36:37]
	v_add_f64 v[36:37], v[18:19], v[20:21]
	v_add_f64 v[20:21], v[20:21], v[24:25]
	v_fmac_f64_e32 v[18:19], -0.5, v[20:21]
	v_add_f64 v[20:21], v[60:61], -v[22:23]
	v_mul_f64 v[70:71], v[42:43], v[50:51]
	v_fma_f64 v[54:55], s[2:3], v[20:21], v[18:19]
	v_fmac_f64_e32 v[18:19], s[4:5], v[20:21]
	v_add_f64 v[20:21], v[12:13], v[26:27]
	v_fmac_f64_e32 v[70:71], v[40:41], v[48:49]
	v_add_f64 v[48:49], v[20:21], v[30:31]
	v_add_f64 v[20:21], v[26:27], v[30:31]
	v_fmac_f64_e32 v[12:13], -0.5, v[20:21]
	v_add_f64 v[20:21], v[28:29], -v[32:33]
	v_fma_f64 v[44:45], s[4:5], v[20:21], v[12:13]
	v_fmac_f64_e32 v[12:13], s[2:3], v[20:21]
	v_add_f64 v[20:21], v[14:15], v[28:29]
	v_add_f64 v[50:51], v[20:21], v[32:33]
	;; [unrolled: 1-line block ×3, first 2 shown]
	v_fmac_f64_e32 v[14:15], -0.5, v[20:21]
	v_add_f64 v[20:21], v[26:27], -v[30:31]
	v_fma_f64 v[46:47], s[2:3], v[20:21], v[14:15]
	v_fmac_f64_e32 v[14:15], s[4:5], v[20:21]
	v_add_f64 v[20:21], v[8:9], v[34:35]
	v_add_f64 v[40:41], v[20:21], v[62:63]
	;; [unrolled: 1-line block ×3, first 2 shown]
	v_fmac_f64_e32 v[8:9], -0.5, v[20:21]
	v_add_f64 v[20:21], v[38:39], -v[64:65]
	v_add_f64 v[58:59], v[36:37], v[24:25]
	v_fma_f64 v[36:37], s[4:5], v[20:21], v[8:9]
	v_fmac_f64_e32 v[8:9], s[2:3], v[20:21]
	v_add_f64 v[20:21], v[10:11], v[38:39]
	v_add_f64 v[42:43], v[20:21], v[64:65]
	v_add_f64 v[20:21], v[38:39], v[64:65]
	v_fmac_f64_e32 v[10:11], -0.5, v[20:21]
	v_add_f64 v[20:21], v[34:35], -v[62:63]
	v_fma_f64 v[38:39], s[2:3], v[20:21], v[10:11]
	v_fmac_f64_e32 v[10:11], s[4:5], v[20:21]
	v_add_f64 v[20:21], v[4:5], v[66:67]
	v_add_f64 v[32:33], v[20:21], v[70:71]
	v_add_f64 v[20:21], v[66:67], v[70:71]
	v_fmac_f64_e32 v[4:5], -0.5, v[20:21]
	v_add_f64 v[20:21], v[68:69], -v[72:73]
	v_fma_f64 v[28:29], s[4:5], v[20:21], v[4:5]
	v_fmac_f64_e32 v[4:5], s[2:3], v[20:21]
	v_add_f64 v[20:21], v[6:7], v[68:69]
	v_add_f64 v[34:35], v[20:21], v[72:73]
	v_add_f64 v[20:21], v[68:69], v[72:73]
	v_fmac_f64_e32 v[6:7], -0.5, v[20:21]
	v_add_f64 v[20:21], v[66:67], -v[70:71]
	v_fma_f64 v[30:31], s[2:3], v[20:21], v[6:7]
	v_fmac_f64_e32 v[6:7], s[4:5], v[20:21]
	v_add_f64 v[20:21], v[0:1], v[74:75]
	v_add_f64 v[24:25], v[20:21], v[128:129]
	v_add_f64 v[20:21], v[74:75], v[128:129]
	v_fmac_f64_e32 v[0:1], -0.5, v[20:21]
	v_add_f64 v[22:23], v[76:77], -v[130:131]
	v_fma_f64 v[20:21], s[4:5], v[22:23], v[0:1]
	v_fmac_f64_e32 v[0:1], s[2:3], v[22:23]
	v_add_f64 v[22:23], v[2:3], v[76:77]
	v_add_f64 v[26:27], v[22:23], v[130:131]
	v_add_f64 v[22:23], v[76:77], v[130:131]
	v_fmac_f64_e32 v[2:3], -0.5, v[22:23]
	v_add_f64 v[60:61], v[74:75], -v[128:129]
	v_fma_f64 v[22:23], s[2:3], v[60:61], v[2:3]
	v_fmac_f64_e32 v[2:3], s[4:5], v[60:61]
	v_accvgpr_read_b32 v60, a146
	s_barrier
	ds_write_b128 v60, v[56:59]
	ds_write_b128 v60, v[52:55] offset:720
	ds_write_b128 v60, v[16:19] offset:1440
	v_accvgpr_read_b32 v16, a141
	ds_write_b128 v16, v[48:51]
	ds_write_b128 v16, v[44:47] offset:720
	ds_write_b128 v16, v[12:15] offset:1440
	v_accvgpr_read_b32 v12, a140
	;; [unrolled: 4-line block ×4, first 2 shown]
	ds_write_b128 v4, v[24:27]
	ds_write_b128 v4, v[20:23] offset:720
	ds_write_b128 v4, v[0:3] offset:1440
	s_waitcnt lgkmcnt(0)
	s_barrier
	ds_read_b128 v[0:3], v120
	ds_read_b128 v[20:23], v120 offset:19440
	ds_read_b128 v[24:27], v120 offset:38880
	;; [unrolled: 1-line block ×14, first 2 shown]
	s_waitcnt lgkmcnt(13)
	v_mul_f64 v[60:61], v[186:187], v[22:23]
	v_fmac_f64_e32 v[60:61], v[184:185], v[20:21]
	v_mul_f64 v[20:21], v[186:187], v[20:21]
	v_fma_f64 v[62:63], v[184:185], v[22:23], -v[20:21]
	s_waitcnt lgkmcnt(12)
	v_mul_f64 v[20:21], v[182:183], v[24:25]
	v_mul_f64 v[64:65], v[182:183], v[26:27]
	v_fma_f64 v[26:27], v[180:181], v[26:27], -v[20:21]
	s_waitcnt lgkmcnt(10)
	v_mul_f64 v[20:21], v[194:195], v[28:29]
	v_fma_f64 v[68:69], v[192:193], v[30:31], -v[20:21]
	s_waitcnt lgkmcnt(9)
	v_mul_f64 v[20:21], v[190:191], v[32:33]
	v_mul_f64 v[70:71], v[190:191], v[34:35]
	v_fma_f64 v[34:35], v[188:189], v[34:35], -v[20:21]
	s_waitcnt lgkmcnt(7)
	;; [unrolled: 7-line block ×3, first 2 shown]
	v_mul_f64 v[20:21], v[210:211], v[44:45]
	v_fma_f64 v[130:131], v[208:209], v[46:47], -v[20:21]
	s_waitcnt lgkmcnt(3)
	v_mul_f64 v[20:21], v[206:207], v[48:49]
	v_fmac_f64_e32 v[64:65], v[180:181], v[24:25]
	v_mul_f64 v[132:133], v[206:207], v[50:51]
	v_fma_f64 v[50:51], v[204:205], v[50:51], -v[20:21]
	s_waitcnt lgkmcnt(1)
	v_mul_f64 v[20:21], v[218:219], v[52:53]
	v_fma_f64 v[136:137], v[216:217], v[54:55], -v[20:21]
	s_waitcnt lgkmcnt(0)
	v_mul_f64 v[20:21], v[214:215], v[56:57]
	v_add_f64 v[22:23], v[60:61], v[64:65]
	v_mul_f64 v[138:139], v[214:215], v[58:59]
	v_fma_f64 v[58:59], v[212:213], v[58:59], -v[20:21]
	v_add_f64 v[20:21], v[0:1], v[60:61]
	v_fmac_f64_e32 v[0:1], -0.5, v[22:23]
	v_add_f64 v[22:23], v[62:63], -v[26:27]
	v_mul_f64 v[66:67], v[194:195], v[30:31]
	v_fma_f64 v[24:25], s[4:5], v[22:23], v[0:1]
	v_fmac_f64_e32 v[0:1], s[2:3], v[22:23]
	v_add_f64 v[22:23], v[2:3], v[62:63]
	v_fmac_f64_e32 v[66:67], v[192:193], v[28:29]
	v_fmac_f64_e32 v[70:71], v[188:189], v[32:33]
	v_add_f64 v[22:23], v[22:23], v[26:27]
	v_add_f64 v[26:27], v[62:63], v[26:27]
	v_fmac_f64_e32 v[2:3], -0.5, v[26:27]
	v_add_f64 v[28:29], v[60:61], -v[64:65]
	v_add_f64 v[30:31], v[66:67], v[70:71]
	v_fma_f64 v[26:27], s[2:3], v[28:29], v[2:3]
	v_fmac_f64_e32 v[2:3], s[4:5], v[28:29]
	v_add_f64 v[28:29], v[8:9], v[66:67]
	v_fmac_f64_e32 v[8:9], -0.5, v[30:31]
	v_add_f64 v[30:31], v[68:69], -v[34:35]
	v_mul_f64 v[72:73], v[202:203], v[38:39]
	v_fma_f64 v[32:33], s[4:5], v[30:31], v[8:9]
	v_fmac_f64_e32 v[8:9], s[2:3], v[30:31]
	v_add_f64 v[30:31], v[10:11], v[68:69]
	v_fmac_f64_e32 v[72:73], v[200:201], v[36:37]
	v_fmac_f64_e32 v[76:77], v[196:197], v[40:41]
	v_add_f64 v[30:31], v[30:31], v[34:35]
	v_add_f64 v[34:35], v[68:69], v[34:35]
	v_fmac_f64_e32 v[10:11], -0.5, v[34:35]
	v_add_f64 v[36:37], v[66:67], -v[70:71]
	v_add_f64 v[38:39], v[72:73], v[76:77]
	v_fma_f64 v[34:35], s[2:3], v[36:37], v[10:11]
	v_fmac_f64_e32 v[10:11], s[4:5], v[36:37]
	;; [unrolled: 16-line block ×4, first 2 shown]
	v_add_f64 v[52:53], v[12:13], v[134:135]
	v_fmac_f64_e32 v[12:13], -0.5, v[54:55]
	v_add_f64 v[54:55], v[136:137], -v[58:59]
	v_fma_f64 v[56:57], s[4:5], v[54:55], v[12:13]
	v_fmac_f64_e32 v[12:13], s[2:3], v[54:55]
	v_add_f64 v[54:55], v[14:15], v[136:137]
	v_add_f64 v[54:55], v[54:55], v[58:59]
	;; [unrolled: 1-line block ×3, first 2 shown]
	v_fmac_f64_e32 v[14:15], -0.5, v[58:59]
	v_add_f64 v[60:61], v[134:135], -v[138:139]
	v_add_f64 v[20:21], v[20:21], v[64:65]
	v_fma_f64 v[58:59], s[2:3], v[60:61], v[14:15]
	v_fmac_f64_e32 v[14:15], s[4:5], v[60:61]
	v_accvgpr_read_b32 v60, a149
	v_add_f64 v[28:29], v[28:29], v[70:71]
	s_barrier
	ds_write_b128 v60, v[20:23]
	ds_write_b128 v60, v[24:27] offset:2160
	ds_write_b128 v60, v[0:3] offset:4320
	v_accvgpr_read_b32 v0, a150
	v_add_f64 v[36:37], v[36:37], v[76:77]
	ds_write_b128 v0, v[28:31]
	ds_write_b128 v0, v[32:35] offset:2160
	ds_write_b128 v0, v[8:11] offset:4320
	v_accvgpr_read_b32 v0, a151
	v_add_f64 v[44:45], v[44:45], v[132:133]
	;; [unrolled: 5-line block ×3, first 2 shown]
	ds_write_b128 v0, v[44:47]
	ds_write_b128 v0, v[48:51] offset:2160
	ds_write_b128 v0, v[16:19] offset:4320
	v_accvgpr_read_b32 v0, a153
	ds_write_b128 v0, v[52:55]
	ds_write_b128 v0, v[56:59] offset:2160
	ds_write_b128 v0, v[12:15] offset:4320
	s_waitcnt lgkmcnt(0)
	s_barrier
	ds_read_b128 v[0:3], v120
	ds_read_b128 v[20:23], v120 offset:19440
	ds_read_b128 v[24:27], v120 offset:38880
	;; [unrolled: 1-line block ×14, first 2 shown]
	s_waitcnt lgkmcnt(13)
	v_mul_f64 v[60:61], v[226:227], v[22:23]
	v_fmac_f64_e32 v[60:61], v[224:225], v[20:21]
	v_mul_f64 v[20:21], v[226:227], v[20:21]
	v_fma_f64 v[62:63], v[224:225], v[22:23], -v[20:21]
	s_waitcnt lgkmcnt(12)
	v_mul_f64 v[20:21], v[222:223], v[24:25]
	v_mul_f64 v[64:65], v[222:223], v[26:27]
	v_fma_f64 v[26:27], v[220:221], v[26:27], -v[20:21]
	s_waitcnt lgkmcnt(10)
	v_mul_f64 v[20:21], v[234:235], v[28:29]
	v_fma_f64 v[68:69], v[232:233], v[30:31], -v[20:21]
	s_waitcnt lgkmcnt(9)
	v_mul_f64 v[20:21], v[230:231], v[32:33]
	v_mul_f64 v[70:71], v[230:231], v[34:35]
	v_fma_f64 v[34:35], v[228:229], v[34:35], -v[20:21]
	s_waitcnt lgkmcnt(7)
	;; [unrolled: 7-line block ×3, first 2 shown]
	v_mul_f64 v[20:21], v[250:251], v[44:45]
	v_fma_f64 v[130:131], v[248:249], v[46:47], -v[20:21]
	s_waitcnt lgkmcnt(3)
	v_mul_f64 v[20:21], v[246:247], v[48:49]
	v_fmac_f64_e32 v[64:65], v[220:221], v[24:25]
	v_mul_f64 v[132:133], v[246:247], v[50:51]
	v_fma_f64 v[50:51], v[244:245], v[50:51], -v[20:21]
	s_waitcnt lgkmcnt(1)
	v_mul_f64 v[134:135], v[124:125], v[54:55]
	v_mul_f64 v[20:21], v[124:125], v[52:53]
	v_fmac_f64_e32 v[134:135], v[122:123], v[52:53]
	v_fma_f64 v[122:123], v[122:123], v[54:55], -v[20:21]
	s_waitcnt lgkmcnt(0)
	v_mul_f64 v[20:21], v[254:255], v[56:57]
	v_add_f64 v[22:23], v[60:61], v[64:65]
	v_mul_f64 v[124:125], v[254:255], v[58:59]
	v_fma_f64 v[58:59], v[252:253], v[58:59], -v[20:21]
	v_add_f64 v[20:21], v[0:1], v[60:61]
	v_fmac_f64_e32 v[0:1], -0.5, v[22:23]
	v_add_f64 v[22:23], v[62:63], -v[26:27]
	v_mul_f64 v[66:67], v[234:235], v[30:31]
	v_fma_f64 v[24:25], s[4:5], v[22:23], v[0:1]
	v_fmac_f64_e32 v[0:1], s[2:3], v[22:23]
	v_add_f64 v[22:23], v[2:3], v[62:63]
	v_fmac_f64_e32 v[66:67], v[232:233], v[28:29]
	v_fmac_f64_e32 v[70:71], v[228:229], v[32:33]
	v_add_f64 v[22:23], v[22:23], v[26:27]
	v_add_f64 v[26:27], v[62:63], v[26:27]
	v_fmac_f64_e32 v[2:3], -0.5, v[26:27]
	v_add_f64 v[28:29], v[60:61], -v[64:65]
	v_add_f64 v[30:31], v[66:67], v[70:71]
	v_fma_f64 v[26:27], s[2:3], v[28:29], v[2:3]
	v_fmac_f64_e32 v[2:3], s[4:5], v[28:29]
	v_add_f64 v[28:29], v[8:9], v[66:67]
	v_fmac_f64_e32 v[8:9], -0.5, v[30:31]
	v_add_f64 v[30:31], v[68:69], -v[34:35]
	v_mul_f64 v[72:73], v[242:243], v[38:39]
	v_fma_f64 v[32:33], s[4:5], v[30:31], v[8:9]
	v_fmac_f64_e32 v[8:9], s[2:3], v[30:31]
	v_add_f64 v[30:31], v[10:11], v[68:69]
	v_fmac_f64_e32 v[72:73], v[240:241], v[36:37]
	v_fmac_f64_e32 v[76:77], v[236:237], v[40:41]
	v_add_f64 v[30:31], v[30:31], v[34:35]
	v_add_f64 v[34:35], v[68:69], v[34:35]
	v_fmac_f64_e32 v[10:11], -0.5, v[34:35]
	v_add_f64 v[36:37], v[66:67], -v[70:71]
	v_add_f64 v[38:39], v[72:73], v[76:77]
	v_fma_f64 v[34:35], s[2:3], v[36:37], v[10:11]
	v_fmac_f64_e32 v[10:11], s[4:5], v[36:37]
	;; [unrolled: 16-line block ×3, first 2 shown]
	v_add_f64 v[44:45], v[12:13], v[128:129]
	v_fmac_f64_e32 v[12:13], -0.5, v[46:47]
	v_add_f64 v[46:47], v[130:131], -v[50:51]
	v_fma_f64 v[48:49], s[4:5], v[46:47], v[12:13]
	v_fmac_f64_e32 v[12:13], s[2:3], v[46:47]
	v_add_f64 v[46:47], v[14:15], v[130:131]
	v_fmac_f64_e32 v[124:125], v[252:253], v[56:57]
	v_add_f64 v[46:47], v[46:47], v[50:51]
	v_add_f64 v[50:51], v[130:131], v[50:51]
	v_fmac_f64_e32 v[14:15], -0.5, v[50:51]
	v_add_f64 v[52:53], v[128:129], -v[132:133]
	v_add_f64 v[54:55], v[134:135], v[124:125]
	v_fma_f64 v[50:51], s[2:3], v[52:53], v[14:15]
	v_fmac_f64_e32 v[14:15], s[4:5], v[52:53]
	v_add_f64 v[52:53], v[16:17], v[134:135]
	v_fmac_f64_e32 v[16:17], -0.5, v[54:55]
	v_add_f64 v[54:55], v[122:123], -v[58:59]
	v_fma_f64 v[56:57], s[4:5], v[54:55], v[16:17]
	v_fmac_f64_e32 v[16:17], s[2:3], v[54:55]
	v_add_f64 v[54:55], v[18:19], v[122:123]
	v_add_f64 v[20:21], v[20:21], v[64:65]
	;; [unrolled: 1-line block ×5, first 2 shown]
	v_fmac_f64_e32 v[18:19], -0.5, v[58:59]
	v_add_f64 v[60:61], v[134:135], -v[124:125]
	s_barrier
	ds_write_b128 v120, v[20:23]
	ds_write_b128 v120, v[24:27] offset:6480
	ds_write_b128 v120, v[0:3] offset:12960
	v_accvgpr_read_b32 v0, a154
	v_add_f64 v[36:37], v[36:37], v[76:77]
	v_add_f64 v[44:45], v[44:45], v[132:133]
	;; [unrolled: 1-line block ×3, first 2 shown]
	v_fma_f64 v[58:59], s[2:3], v[60:61], v[18:19]
	v_fmac_f64_e32 v[18:19], s[4:5], v[60:61]
	ds_write_b128 v0, v[28:31]
	ds_write_b128 v0, v[32:35] offset:6480
	ds_write_b128 v0, v[8:11] offset:12960
	;; [unrolled: 1-line block ×5, first 2 shown]
	v_accvgpr_read_b32 v0, a155
	ds_write_b128 v0, v[44:47]
	ds_write_b128 v0, v[48:51] offset:6480
	ds_write_b128 v0, v[12:15] offset:12960
	;; [unrolled: 1-line block ×5, first 2 shown]
	s_waitcnt lgkmcnt(0)
	s_barrier
	ds_read_b128 v[0:3], v120
	ds_read_b128 v[20:23], v120 offset:19440
	ds_read_b128 v[24:27], v120 offset:38880
	;; [unrolled: 1-line block ×14, first 2 shown]
	s_waitcnt lgkmcnt(13)
	v_mul_f64 v[60:61], v[114:115], v[22:23]
	v_fmac_f64_e32 v[60:61], v[112:113], v[20:21]
	v_mul_f64 v[20:21], v[114:115], v[20:21]
	v_fma_f64 v[62:63], v[112:113], v[22:23], -v[20:21]
	s_waitcnt lgkmcnt(12)
	v_mul_f64 v[20:21], v[118:119], v[24:25]
	v_mul_f64 v[64:65], v[118:119], v[26:27]
	v_fma_f64 v[26:27], v[116:117], v[26:27], -v[20:21]
	s_waitcnt lgkmcnt(10)
	v_mul_f64 v[20:21], v[106:107], v[28:29]
	v_fma_f64 v[68:69], v[104:105], v[30:31], -v[20:21]
	s_waitcnt lgkmcnt(9)
	v_mul_f64 v[20:21], v[110:111], v[32:33]
	v_mul_f64 v[70:71], v[110:111], v[34:35]
	v_fma_f64 v[34:35], v[108:109], v[34:35], -v[20:21]
	s_waitcnt lgkmcnt(7)
	v_mul_f64 v[20:21], v[98:99], v[36:37]
	;; [unrolled: 4-line block ×3, first 2 shown]
	v_fmac_f64_e32 v[72:73], v[96:97], v[36:37]
	v_mul_f64 v[76:77], v[102:103], v[42:43]
	v_fma_f64 v[42:43], v[100:101], v[42:43], -v[20:21]
	s_waitcnt lgkmcnt(4)
	v_mul_f64 v[96:97], v[90:91], v[46:47]
	v_mul_f64 v[20:21], v[90:91], v[44:45]
	v_fmac_f64_e32 v[96:97], v[88:89], v[44:45]
	v_fma_f64 v[88:89], v[88:89], v[46:47], -v[20:21]
	s_waitcnt lgkmcnt(3)
	v_mul_f64 v[90:91], v[94:95], v[50:51]
	v_mul_f64 v[20:21], v[94:95], v[48:49]
	v_fmac_f64_e32 v[64:65], v[116:117], v[24:25]
	v_fmac_f64_e32 v[90:91], v[92:93], v[48:49]
	v_fma_f64 v[50:51], v[92:93], v[50:51], -v[20:21]
	s_waitcnt lgkmcnt(1)
	v_mul_f64 v[92:93], v[82:83], v[54:55]
	v_mul_f64 v[20:21], v[82:83], v[52:53]
	v_fmac_f64_e32 v[92:93], v[80:81], v[52:53]
	v_fma_f64 v[80:81], v[80:81], v[54:55], -v[20:21]
	s_waitcnt lgkmcnt(0)
	v_mul_f64 v[20:21], v[86:87], v[56:57]
	v_add_f64 v[22:23], v[60:61], v[64:65]
	v_mul_f64 v[82:83], v[86:87], v[58:59]
	v_fma_f64 v[58:59], v[84:85], v[58:59], -v[20:21]
	v_add_f64 v[20:21], v[0:1], v[60:61]
	v_fmac_f64_e32 v[0:1], -0.5, v[22:23]
	v_add_f64 v[22:23], v[62:63], -v[26:27]
	v_mul_f64 v[66:67], v[106:107], v[30:31]
	v_fma_f64 v[24:25], s[4:5], v[22:23], v[0:1]
	v_fmac_f64_e32 v[0:1], s[2:3], v[22:23]
	v_add_f64 v[22:23], v[2:3], v[62:63]
	v_fmac_f64_e32 v[66:67], v[104:105], v[28:29]
	v_fmac_f64_e32 v[70:71], v[108:109], v[32:33]
	v_add_f64 v[22:23], v[22:23], v[26:27]
	v_add_f64 v[26:27], v[62:63], v[26:27]
	v_fmac_f64_e32 v[2:3], -0.5, v[26:27]
	v_add_f64 v[28:29], v[60:61], -v[64:65]
	v_add_f64 v[30:31], v[66:67], v[70:71]
	v_fma_f64 v[26:27], s[2:3], v[28:29], v[2:3]
	v_fmac_f64_e32 v[2:3], s[4:5], v[28:29]
	v_add_f64 v[28:29], v[8:9], v[66:67]
	v_fmac_f64_e32 v[8:9], -0.5, v[30:31]
	v_add_f64 v[30:31], v[68:69], -v[34:35]
	v_fma_f64 v[32:33], s[4:5], v[30:31], v[8:9]
	v_fmac_f64_e32 v[8:9], s[2:3], v[30:31]
	v_add_f64 v[30:31], v[10:11], v[68:69]
	v_fmac_f64_e32 v[76:77], v[100:101], v[40:41]
	v_add_f64 v[30:31], v[30:31], v[34:35]
	v_add_f64 v[34:35], v[68:69], v[34:35]
	v_fmac_f64_e32 v[10:11], -0.5, v[34:35]
	v_add_f64 v[36:37], v[66:67], -v[70:71]
	v_add_f64 v[38:39], v[72:73], v[76:77]
	v_fma_f64 v[34:35], s[2:3], v[36:37], v[10:11]
	v_fmac_f64_e32 v[10:11], s[4:5], v[36:37]
	v_add_f64 v[36:37], v[4:5], v[72:73]
	v_fmac_f64_e32 v[4:5], -0.5, v[38:39]
	v_add_f64 v[38:39], v[74:75], -v[42:43]
	v_fma_f64 v[40:41], s[4:5], v[38:39], v[4:5]
	v_fmac_f64_e32 v[4:5], s[2:3], v[38:39]
	v_add_f64 v[38:39], v[6:7], v[74:75]
	v_add_f64 v[38:39], v[38:39], v[42:43]
	;; [unrolled: 1-line block ×3, first 2 shown]
	v_fmac_f64_e32 v[6:7], -0.5, v[42:43]
	v_add_f64 v[44:45], v[72:73], -v[76:77]
	v_add_f64 v[46:47], v[96:97], v[90:91]
	v_fma_f64 v[42:43], s[2:3], v[44:45], v[6:7]
	v_fmac_f64_e32 v[6:7], s[4:5], v[44:45]
	v_add_f64 v[44:45], v[12:13], v[96:97]
	v_fmac_f64_e32 v[12:13], -0.5, v[46:47]
	v_add_f64 v[46:47], v[88:89], -v[50:51]
	v_fma_f64 v[48:49], s[4:5], v[46:47], v[12:13]
	v_fmac_f64_e32 v[12:13], s[2:3], v[46:47]
	v_add_f64 v[46:47], v[14:15], v[88:89]
	v_fmac_f64_e32 v[82:83], v[84:85], v[56:57]
	v_add_f64 v[46:47], v[46:47], v[50:51]
	v_add_f64 v[50:51], v[88:89], v[50:51]
	v_fmac_f64_e32 v[14:15], -0.5, v[50:51]
	v_add_f64 v[52:53], v[96:97], -v[90:91]
	v_add_f64 v[54:55], v[92:93], v[82:83]
	v_fma_f64 v[50:51], s[2:3], v[52:53], v[14:15]
	v_fmac_f64_e32 v[14:15], s[4:5], v[52:53]
	v_add_f64 v[52:53], v[16:17], v[92:93]
	v_fmac_f64_e32 v[16:17], -0.5, v[54:55]
	v_add_f64 v[54:55], v[80:81], -v[58:59]
	v_fma_f64 v[56:57], s[4:5], v[54:55], v[16:17]
	v_fmac_f64_e32 v[16:17], s[2:3], v[54:55]
	v_add_f64 v[54:55], v[18:19], v[80:81]
	v_add_f64 v[54:55], v[54:55], v[58:59]
	;; [unrolled: 1-line block ×4, first 2 shown]
	v_fmac_f64_e32 v[18:19], -0.5, v[58:59]
	v_add_f64 v[60:61], v[92:93], -v[82:83]
	v_add_f64 v[28:29], v[28:29], v[70:71]
	v_add_f64 v[36:37], v[36:37], v[76:77]
	;; [unrolled: 1-line block ×4, first 2 shown]
	v_fma_f64 v[58:59], s[2:3], v[60:61], v[18:19]
	v_fmac_f64_e32 v[18:19], s[4:5], v[60:61]
	ds_write_b128 v120, v[20:23]
	ds_write_b128 v120, v[24:27] offset:19440
	ds_write_b128 v120, v[0:3] offset:38880
	;; [unrolled: 1-line block ×14, first 2 shown]
	s_waitcnt lgkmcnt(0)
	s_barrier
	ds_read_b128 v[0:3], v120
	v_accvgpr_read_b32 v9, a7
	v_accvgpr_read_b32 v8, a6
	;; [unrolled: 1-line block ×4, first 2 shown]
	s_waitcnt lgkmcnt(0)
	v_mul_f64 v[4:5], v[8:9], v[2:3]
	v_fmac_f64_e32 v[4:5], v[6:7], v[0:1]
	s_mov_b32 s2, 0x8098d3d3
	v_mul_f64 v[0:1], v[8:9], v[0:1]
	s_mov_b32 s3, 0x3f31facd
	v_fma_f64 v[0:1], v[6:7], v[2:3], -v[0:1]
	v_mul_f64 v[6:7], v[0:1], s[2:3]
	v_mad_u64_u32 v[0:1], s[4:5], s0, v78, 0
	v_mov_b32_e32 v2, v1
	v_mad_u64_u32 v[2:3], s[4:5], s1, v78, v[2:3]
	v_mov_b32_e32 v1, v2
	v_accvgpr_read_b32 v3, a1
	v_accvgpr_read_b32 v9, a3
	;; [unrolled: 1-line block ×4, first 2 shown]
	v_lshl_add_u64 v[2:3], v[8:9], 4, v[2:3]
	v_lshl_add_u64 v[8:9], v[0:1], 4, v[2:3]
	ds_read_b128 v[0:3], v120 offset:11664
	v_accvgpr_read_b32 v10, a12
	v_mul_f64 v[4:5], v[4:5], s[2:3]
	v_accvgpr_read_b32 v12, a14
	v_accvgpr_read_b32 v13, a15
	global_store_dwordx4 v[8:9], v[4:7], off
	v_accvgpr_read_b32 v11, a13
	v_mad_u64_u32 v[8:9], s[4:5], s0, v126, v[8:9]
	s_waitcnt lgkmcnt(0)
	v_mul_f64 v[4:5], v[12:13], v[2:3]
	v_fmac_f64_e32 v[4:5], v[10:11], v[0:1]
	v_mul_f64 v[0:1], v[12:13], v[0:1]
	v_fma_f64 v[0:1], v[10:11], v[2:3], -v[0:1]
	v_mul_f64 v[6:7], v[0:1], s[2:3]
	ds_read_b128 v[0:3], v120 offset:23328
	s_mul_i32 s4, s1, 0x2d90
	v_accvgpr_read_b32 v10, a16
	v_mul_f64 v[4:5], v[4:5], s[2:3]
	v_add_u32_e32 v9, s4, v9
	v_accvgpr_read_b32 v12, a18
	v_accvgpr_read_b32 v13, a19
	global_store_dwordx4 v[8:9], v[4:7], off
	v_accvgpr_read_b32 v11, a17
	v_mad_u64_u32 v[8:9], s[6:7], s0, v126, v[8:9]
	s_waitcnt lgkmcnt(0)
	v_mul_f64 v[4:5], v[12:13], v[2:3]
	v_fmac_f64_e32 v[4:5], v[10:11], v[0:1]
	v_mul_f64 v[0:1], v[12:13], v[0:1]
	v_fma_f64 v[0:1], v[10:11], v[2:3], -v[0:1]
	v_mul_f64 v[6:7], v[0:1], s[2:3]
	ds_read_b128 v[0:3], v120 offset:34992
	v_accvgpr_read_b32 v10, a36
	v_mul_f64 v[4:5], v[4:5], s[2:3]
	v_add_u32_e32 v9, s4, v9
	v_accvgpr_read_b32 v12, a38
	v_accvgpr_read_b32 v13, a39
	global_store_dwordx4 v[8:9], v[4:7], off
	v_accvgpr_read_b32 v11, a37
	v_mad_u64_u32 v[8:9], s[6:7], s0, v126, v[8:9]
	s_waitcnt lgkmcnt(0)
	v_mul_f64 v[4:5], v[12:13], v[2:3]
	v_fmac_f64_e32 v[4:5], v[10:11], v[0:1]
	v_mul_f64 v[0:1], v[12:13], v[0:1]
	v_fma_f64 v[0:1], v[10:11], v[2:3], -v[0:1]
	v_mul_f64 v[6:7], v[0:1], s[2:3]
	ds_read_b128 v[0:3], v120 offset:46656
	;; [unrolled: 15-line block ×3, first 2 shown]
	v_accvgpr_read_b32 v13, a11
	v_mul_f64 v[4:5], v[4:5], s[2:3]
	v_add_u32_e32 v9, s4, v9
	v_accvgpr_read_b32 v12, a10
	global_store_dwordx4 v[8:9], v[4:7], off
	v_accvgpr_read_b32 v11, a9
	v_accvgpr_read_b32 v10, a8
	s_waitcnt lgkmcnt(0)
	v_mul_f64 v[4:5], v[12:13], v[2:3]
	v_fmac_f64_e32 v[4:5], v[10:11], v[0:1]
	v_mul_f64 v[0:1], v[12:13], v[0:1]
	v_fma_f64 v[0:1], v[10:11], v[2:3], -v[0:1]
	v_mul_f64 v[6:7], v[0:1], s[2:3]
	ds_read_b128 v[0:3], v120 offset:15552
	v_mov_b32_e32 v10, 0xffff58f0
	s_mul_i32 s1, s1, 0xffff58f0
	v_mad_u64_u32 v[8:9], s[6:7], s0, v10, v[8:9]
	s_sub_i32 s1, s1, s0
	v_accvgpr_read_b32 v12, a28
	v_mul_f64 v[4:5], v[4:5], s[2:3]
	v_add_u32_e32 v9, s1, v9
	v_accvgpr_read_b32 v14, a30
	v_accvgpr_read_b32 v15, a31
	global_store_dwordx4 v[8:9], v[4:7], off
	v_accvgpr_read_b32 v13, a29
	v_mad_u64_u32 v[8:9], s[6:7], s0, v126, v[8:9]
	s_waitcnt lgkmcnt(0)
	v_mul_f64 v[4:5], v[14:15], v[2:3]
	v_fmac_f64_e32 v[4:5], v[12:13], v[0:1]
	v_mul_f64 v[0:1], v[14:15], v[0:1]
	v_fma_f64 v[0:1], v[12:13], v[2:3], -v[0:1]
	v_mul_f64 v[6:7], v[0:1], s[2:3]
	ds_read_b128 v[0:3], v120 offset:27216
	v_accvgpr_read_b32 v12, a52
	v_mul_f64 v[4:5], v[4:5], s[2:3]
	v_add_u32_e32 v9, s4, v9
	v_accvgpr_read_b32 v14, a54
	v_accvgpr_read_b32 v15, a55
	global_store_dwordx4 v[8:9], v[4:7], off
	v_accvgpr_read_b32 v13, a53
	v_mad_u64_u32 v[8:9], s[6:7], s0, v126, v[8:9]
	s_waitcnt lgkmcnt(0)
	v_mul_f64 v[4:5], v[14:15], v[2:3]
	v_fmac_f64_e32 v[4:5], v[12:13], v[0:1]
	v_mul_f64 v[0:1], v[14:15], v[0:1]
	v_fma_f64 v[0:1], v[12:13], v[2:3], -v[0:1]
	v_mul_f64 v[6:7], v[0:1], s[2:3]
	ds_read_b128 v[0:3], v120 offset:38880
	;; [unrolled: 15-line block ×8, first 2 shown]
	v_accvgpr_read_b32 v10, a24
	v_mul_f64 v[4:5], v[4:5], s[2:3]
	v_add_u32_e32 v9, s4, v9
	v_accvgpr_read_b32 v12, a26
	v_accvgpr_read_b32 v13, a27
	global_store_dwordx4 v[8:9], v[4:7], off
	v_accvgpr_read_b32 v11, a25
	s_waitcnt lgkmcnt(0)
	v_mul_f64 v[4:5], v[12:13], v[2:3]
	v_fmac_f64_e32 v[4:5], v[10:11], v[0:1]
	v_mul_f64 v[0:1], v[12:13], v[0:1]
	v_fma_f64 v[0:1], v[10:11], v[2:3], -v[0:1]
	v_mul_f64 v[6:7], v[0:1], s[2:3]
	v_mad_u64_u32 v[0:1], s[0:1], s0, v126, v[8:9]
	v_mul_f64 v[4:5], v[4:5], s[2:3]
	v_add_u32_e32 v1, s4, v1
	global_store_dwordx4 v[0:1], v[4:7], off
.LBB0_2:
	s_endpgm
	.section	.rodata,"a",@progbits
	.p2align	6, 0x0
	.amdhsa_kernel bluestein_single_back_len3645_dim1_dp_op_CI_CI
		.amdhsa_group_segment_fixed_size 58320
		.amdhsa_private_segment_fixed_size 0
		.amdhsa_kernarg_size 104
		.amdhsa_user_sgpr_count 2
		.amdhsa_user_sgpr_dispatch_ptr 0
		.amdhsa_user_sgpr_queue_ptr 0
		.amdhsa_user_sgpr_kernarg_segment_ptr 1
		.amdhsa_user_sgpr_dispatch_id 0
		.amdhsa_user_sgpr_kernarg_preload_length 0
		.amdhsa_user_sgpr_kernarg_preload_offset 0
		.amdhsa_user_sgpr_private_segment_size 0
		.amdhsa_uses_dynamic_stack 0
		.amdhsa_enable_private_segment 0
		.amdhsa_system_sgpr_workgroup_id_x 1
		.amdhsa_system_sgpr_workgroup_id_y 0
		.amdhsa_system_sgpr_workgroup_id_z 0
		.amdhsa_system_sgpr_workgroup_info 0
		.amdhsa_system_vgpr_workitem_id 0
		.amdhsa_next_free_vgpr 412
		.amdhsa_next_free_sgpr 26
		.amdhsa_accum_offset 256
		.amdhsa_reserve_vcc 1
		.amdhsa_float_round_mode_32 0
		.amdhsa_float_round_mode_16_64 0
		.amdhsa_float_denorm_mode_32 3
		.amdhsa_float_denorm_mode_16_64 3
		.amdhsa_dx10_clamp 1
		.amdhsa_ieee_mode 1
		.amdhsa_fp16_overflow 0
		.amdhsa_tg_split 0
		.amdhsa_exception_fp_ieee_invalid_op 0
		.amdhsa_exception_fp_denorm_src 0
		.amdhsa_exception_fp_ieee_div_zero 0
		.amdhsa_exception_fp_ieee_overflow 0
		.amdhsa_exception_fp_ieee_underflow 0
		.amdhsa_exception_fp_ieee_inexact 0
		.amdhsa_exception_int_div_zero 0
	.end_amdhsa_kernel
	.text
.Lfunc_end0:
	.size	bluestein_single_back_len3645_dim1_dp_op_CI_CI, .Lfunc_end0-bluestein_single_back_len3645_dim1_dp_op_CI_CI
                                        ; -- End function
	.section	.AMDGPU.csdata,"",@progbits
; Kernel info:
; codeLenInByte = 24004
; NumSgprs: 32
; NumVgprs: 256
; NumAgprs: 156
; TotalNumVgprs: 412
; ScratchSize: 0
; MemoryBound: 0
; FloatMode: 240
; IeeeMode: 1
; LDSByteSize: 58320 bytes/workgroup (compile time only)
; SGPRBlocks: 3
; VGPRBlocks: 51
; NumSGPRsForWavesPerEU: 32
; NumVGPRsForWavesPerEU: 412
; AccumOffset: 256
; Occupancy: 1
; WaveLimiterHint : 1
; COMPUTE_PGM_RSRC2:SCRATCH_EN: 0
; COMPUTE_PGM_RSRC2:USER_SGPR: 2
; COMPUTE_PGM_RSRC2:TRAP_HANDLER: 0
; COMPUTE_PGM_RSRC2:TGID_X_EN: 1
; COMPUTE_PGM_RSRC2:TGID_Y_EN: 0
; COMPUTE_PGM_RSRC2:TGID_Z_EN: 0
; COMPUTE_PGM_RSRC2:TIDIG_COMP_CNT: 0
; COMPUTE_PGM_RSRC3_GFX90A:ACCUM_OFFSET: 63
; COMPUTE_PGM_RSRC3_GFX90A:TG_SPLIT: 0
	.text
	.p2alignl 6, 3212836864
	.fill 256, 4, 3212836864
	.type	__hip_cuid_b67f2f1a148c6cb,@object ; @__hip_cuid_b67f2f1a148c6cb
	.section	.bss,"aw",@nobits
	.globl	__hip_cuid_b67f2f1a148c6cb
__hip_cuid_b67f2f1a148c6cb:
	.byte	0                               ; 0x0
	.size	__hip_cuid_b67f2f1a148c6cb, 1

	.ident	"AMD clang version 19.0.0git (https://github.com/RadeonOpenCompute/llvm-project roc-6.4.0 25133 c7fe45cf4b819c5991fe208aaa96edf142730f1d)"
	.section	".note.GNU-stack","",@progbits
	.addrsig
	.addrsig_sym __hip_cuid_b67f2f1a148c6cb
	.amdgpu_metadata
---
amdhsa.kernels:
  - .agpr_count:     156
    .args:
      - .actual_access:  read_only
        .address_space:  global
        .offset:         0
        .size:           8
        .value_kind:     global_buffer
      - .actual_access:  read_only
        .address_space:  global
        .offset:         8
        .size:           8
        .value_kind:     global_buffer
      - .actual_access:  read_only
        .address_space:  global
        .offset:         16
        .size:           8
        .value_kind:     global_buffer
      - .actual_access:  read_only
        .address_space:  global
        .offset:         24
        .size:           8
        .value_kind:     global_buffer
      - .actual_access:  read_only
        .address_space:  global
        .offset:         32
        .size:           8
        .value_kind:     global_buffer
      - .offset:         40
        .size:           8
        .value_kind:     by_value
      - .address_space:  global
        .offset:         48
        .size:           8
        .value_kind:     global_buffer
      - .address_space:  global
        .offset:         56
        .size:           8
        .value_kind:     global_buffer
      - .address_space:  global
        .offset:         64
        .size:           8
        .value_kind:     global_buffer
      - .address_space:  global
        .offset:         72
        .size:           8
        .value_kind:     global_buffer
      - .offset:         80
        .size:           4
        .value_kind:     by_value
      - .address_space:  global
        .offset:         88
        .size:           8
        .value_kind:     global_buffer
      - .address_space:  global
        .offset:         96
        .size:           8
        .value_kind:     global_buffer
    .group_segment_fixed_size: 58320
    .kernarg_segment_align: 8
    .kernarg_segment_size: 104
    .language:       OpenCL C
    .language_version:
      - 2
      - 0
    .max_flat_workgroup_size: 243
    .name:           bluestein_single_back_len3645_dim1_dp_op_CI_CI
    .private_segment_fixed_size: 0
    .sgpr_count:     32
    .sgpr_spill_count: 0
    .symbol:         bluestein_single_back_len3645_dim1_dp_op_CI_CI.kd
    .uniform_work_group_size: 1
    .uses_dynamic_stack: false
    .vgpr_count:     412
    .vgpr_spill_count: 0
    .wavefront_size: 64
amdhsa.target:   amdgcn-amd-amdhsa--gfx950
amdhsa.version:
  - 1
  - 2
...

	.end_amdgpu_metadata
